;; amdgpu-corpus repo=ROCm/rocFFT kind=compiled arch=gfx1030 opt=O3
	.text
	.amdgcn_target "amdgcn-amd-amdhsa--gfx1030"
	.amdhsa_code_object_version 6
	.protected	fft_rtc_fwd_len546_factors_13_3_7_2_wgs_117_tpt_39_halfLds_half_op_CI_CI_unitstride_sbrr_R2C_dirReg ; -- Begin function fft_rtc_fwd_len546_factors_13_3_7_2_wgs_117_tpt_39_halfLds_half_op_CI_CI_unitstride_sbrr_R2C_dirReg
	.globl	fft_rtc_fwd_len546_factors_13_3_7_2_wgs_117_tpt_39_halfLds_half_op_CI_CI_unitstride_sbrr_R2C_dirReg
	.p2align	8
	.type	fft_rtc_fwd_len546_factors_13_3_7_2_wgs_117_tpt_39_halfLds_half_op_CI_CI_unitstride_sbrr_R2C_dirReg,@function
fft_rtc_fwd_len546_factors_13_3_7_2_wgs_117_tpt_39_halfLds_half_op_CI_CI_unitstride_sbrr_R2C_dirReg: ; @fft_rtc_fwd_len546_factors_13_3_7_2_wgs_117_tpt_39_halfLds_half_op_CI_CI_unitstride_sbrr_R2C_dirReg
; %bb.0:
	s_load_dwordx4 s[12:15], s[4:5], 0x0
	v_mul_u32_u24_e32 v1, 0x691, v0
	s_clause 0x1
	s_load_dwordx4 s[8:11], s[4:5], 0x58
	s_load_dwordx4 s[16:19], s[4:5], 0x18
	v_mov_b32_e32 v10, 0
	v_mov_b32_e32 v8, 0
	;; [unrolled: 1-line block ×3, first 2 shown]
	v_lshrrev_b32_e32 v1, 16, v1
	v_mad_u64_u32 v[3:4], null, s6, 3, v[1:2]
	v_mov_b32_e32 v4, v10
	v_mov_b32_e32 v1, v8
	;; [unrolled: 1-line block ×5, first 2 shown]
	s_waitcnt lgkmcnt(0)
	v_cmp_lt_u64_e64 s0, s[14:15], 2
	s_and_b32 vcc_lo, exec_lo, s0
	s_cbranch_vccnz .LBB0_8
; %bb.1:
	s_load_dwordx2 s[0:1], s[4:5], 0x10
	v_mov_b32_e32 v8, 0
	v_mov_b32_e32 v9, 0
	s_add_u32 s2, s18, 8
	v_mov_b32_e32 v13, v4
	s_addc_u32 s3, s19, 0
	v_mov_b32_e32 v1, v8
	v_mov_b32_e32 v12, v3
	s_add_u32 s6, s16, 8
	v_mov_b32_e32 v2, v9
	s_addc_u32 s7, s17, 0
	s_mov_b64 s[22:23], 1
	s_waitcnt lgkmcnt(0)
	s_add_u32 s20, s0, 8
	s_addc_u32 s21, s1, 0
.LBB0_2:                                ; =>This Inner Loop Header: Depth=1
	s_load_dwordx2 s[24:25], s[20:21], 0x0
                                        ; implicit-def: $vgpr5_vgpr6
	s_mov_b32 s0, exec_lo
	s_waitcnt lgkmcnt(0)
	v_or_b32_e32 v11, s25, v13
	v_cmpx_ne_u64_e32 0, v[10:11]
	s_xor_b32 s1, exec_lo, s0
	s_cbranch_execz .LBB0_4
; %bb.3:                                ;   in Loop: Header=BB0_2 Depth=1
	v_cvt_f32_u32_e32 v4, s24
	v_cvt_f32_u32_e32 v5, s25
	s_sub_u32 s0, 0, s24
	s_subb_u32 s26, 0, s25
	v_fmac_f32_e32 v4, 0x4f800000, v5
	v_rcp_f32_e32 v4, v4
	v_mul_f32_e32 v4, 0x5f7ffffc, v4
	v_mul_f32_e32 v5, 0x2f800000, v4
	v_trunc_f32_e32 v5, v5
	v_fmac_f32_e32 v4, 0xcf800000, v5
	v_cvt_u32_f32_e32 v5, v5
	v_cvt_u32_f32_e32 v4, v4
	v_mul_lo_u32 v6, s0, v5
	v_mul_hi_u32 v7, s0, v4
	v_mul_lo_u32 v11, s26, v4
	v_add_nc_u32_e32 v6, v7, v6
	v_mul_lo_u32 v7, s0, v4
	v_add_nc_u32_e32 v6, v6, v11
	v_mul_hi_u32 v11, v4, v7
	v_mul_lo_u32 v14, v4, v6
	v_mul_hi_u32 v15, v4, v6
	v_mul_hi_u32 v16, v5, v7
	v_mul_lo_u32 v7, v5, v7
	v_mul_hi_u32 v17, v5, v6
	v_mul_lo_u32 v6, v5, v6
	v_add_co_u32 v11, vcc_lo, v11, v14
	v_add_co_ci_u32_e32 v14, vcc_lo, 0, v15, vcc_lo
	v_add_co_u32 v7, vcc_lo, v11, v7
	v_add_co_ci_u32_e32 v7, vcc_lo, v14, v16, vcc_lo
	v_add_co_ci_u32_e32 v11, vcc_lo, 0, v17, vcc_lo
	v_add_co_u32 v6, vcc_lo, v7, v6
	v_add_co_ci_u32_e32 v7, vcc_lo, 0, v11, vcc_lo
	v_add_co_u32 v4, vcc_lo, v4, v6
	v_add_co_ci_u32_e32 v5, vcc_lo, v5, v7, vcc_lo
	v_mul_hi_u32 v6, s0, v4
	v_mul_lo_u32 v11, s26, v4
	v_mul_lo_u32 v7, s0, v5
	v_add_nc_u32_e32 v6, v6, v7
	v_mul_lo_u32 v7, s0, v4
	v_add_nc_u32_e32 v6, v6, v11
	v_mul_hi_u32 v11, v4, v7
	v_mul_lo_u32 v14, v4, v6
	v_mul_hi_u32 v15, v4, v6
	v_mul_hi_u32 v16, v5, v7
	v_mul_lo_u32 v7, v5, v7
	v_mul_hi_u32 v17, v5, v6
	v_mul_lo_u32 v6, v5, v6
	v_add_co_u32 v11, vcc_lo, v11, v14
	v_add_co_ci_u32_e32 v14, vcc_lo, 0, v15, vcc_lo
	v_add_co_u32 v7, vcc_lo, v11, v7
	v_add_co_ci_u32_e32 v7, vcc_lo, v14, v16, vcc_lo
	v_add_co_ci_u32_e32 v11, vcc_lo, 0, v17, vcc_lo
	v_add_co_u32 v6, vcc_lo, v7, v6
	v_add_co_ci_u32_e32 v7, vcc_lo, 0, v11, vcc_lo
	v_add_co_u32 v6, vcc_lo, v4, v6
	v_add_co_ci_u32_e32 v11, vcc_lo, v5, v7, vcc_lo
	v_mul_hi_u32 v16, v12, v6
	v_mad_u64_u32 v[6:7], null, v13, v6, 0
	v_mad_u64_u32 v[4:5], null, v12, v11, 0
	;; [unrolled: 1-line block ×3, first 2 shown]
	v_add_co_u32 v4, vcc_lo, v16, v4
	v_add_co_ci_u32_e32 v5, vcc_lo, 0, v5, vcc_lo
	v_add_co_u32 v4, vcc_lo, v4, v6
	v_add_co_ci_u32_e32 v4, vcc_lo, v5, v7, vcc_lo
	v_add_co_ci_u32_e32 v5, vcc_lo, 0, v15, vcc_lo
	v_add_co_u32 v7, vcc_lo, v4, v14
	v_add_co_ci_u32_e32 v6, vcc_lo, 0, v5, vcc_lo
	v_mul_lo_u32 v11, s25, v7
	v_mad_u64_u32 v[4:5], null, s24, v7, 0
	v_mul_lo_u32 v14, s24, v6
	v_sub_co_u32 v4, vcc_lo, v12, v4
	v_add3_u32 v5, v5, v14, v11
	v_sub_nc_u32_e32 v11, v13, v5
	v_subrev_co_ci_u32_e64 v11, s0, s25, v11, vcc_lo
	v_add_co_u32 v14, s0, v7, 2
	v_add_co_ci_u32_e64 v15, s0, 0, v6, s0
	v_sub_co_u32 v16, s0, v4, s24
	v_sub_co_ci_u32_e32 v5, vcc_lo, v13, v5, vcc_lo
	v_subrev_co_ci_u32_e64 v11, s0, 0, v11, s0
	v_cmp_le_u32_e32 vcc_lo, s24, v16
	v_cmp_eq_u32_e64 s0, s25, v5
	v_cndmask_b32_e64 v16, 0, -1, vcc_lo
	v_cmp_le_u32_e32 vcc_lo, s25, v11
	v_cndmask_b32_e64 v17, 0, -1, vcc_lo
	v_cmp_le_u32_e32 vcc_lo, s24, v4
	;; [unrolled: 2-line block ×3, first 2 shown]
	v_cndmask_b32_e64 v18, 0, -1, vcc_lo
	v_cmp_eq_u32_e32 vcc_lo, s25, v11
	v_cndmask_b32_e64 v4, v18, v4, s0
	v_cndmask_b32_e32 v11, v17, v16, vcc_lo
	v_add_co_u32 v16, vcc_lo, v7, 1
	v_add_co_ci_u32_e32 v17, vcc_lo, 0, v6, vcc_lo
	v_cmp_ne_u32_e32 vcc_lo, 0, v11
	v_cndmask_b32_e32 v5, v17, v15, vcc_lo
	v_cndmask_b32_e32 v11, v16, v14, vcc_lo
	v_cmp_ne_u32_e32 vcc_lo, 0, v4
	v_cndmask_b32_e32 v6, v6, v5, vcc_lo
	v_cndmask_b32_e32 v5, v7, v11, vcc_lo
.LBB0_4:                                ;   in Loop: Header=BB0_2 Depth=1
	s_andn2_saveexec_b32 s0, s1
	s_cbranch_execz .LBB0_6
; %bb.5:                                ;   in Loop: Header=BB0_2 Depth=1
	v_cvt_f32_u32_e32 v4, s24
	s_sub_i32 s1, 0, s24
	v_rcp_iflag_f32_e32 v4, v4
	v_mul_f32_e32 v4, 0x4f7ffffe, v4
	v_cvt_u32_f32_e32 v4, v4
	v_mul_lo_u32 v5, s1, v4
	v_mul_hi_u32 v5, v4, v5
	v_add_nc_u32_e32 v4, v4, v5
	v_mul_hi_u32 v4, v12, v4
	v_mul_lo_u32 v5, v4, s24
	v_add_nc_u32_e32 v6, 1, v4
	v_sub_nc_u32_e32 v5, v12, v5
	v_subrev_nc_u32_e32 v7, s24, v5
	v_cmp_le_u32_e32 vcc_lo, s24, v5
	v_cndmask_b32_e32 v5, v5, v7, vcc_lo
	v_cndmask_b32_e32 v4, v4, v6, vcc_lo
	v_cmp_le_u32_e32 vcc_lo, s24, v5
	v_add_nc_u32_e32 v6, 1, v4
	v_cndmask_b32_e32 v5, v4, v6, vcc_lo
	v_mov_b32_e32 v6, v10
.LBB0_6:                                ;   in Loop: Header=BB0_2 Depth=1
	s_or_b32 exec_lo, exec_lo, s0
	v_mul_lo_u32 v4, v6, s24
	v_mul_lo_u32 v7, v5, s25
	s_load_dwordx2 s[0:1], s[6:7], 0x0
	v_mad_u64_u32 v[14:15], null, v5, s24, 0
	s_load_dwordx2 s[24:25], s[2:3], 0x0
	s_add_u32 s22, s22, 1
	s_addc_u32 s23, s23, 0
	s_add_u32 s2, s2, 8
	s_addc_u32 s3, s3, 0
	s_add_u32 s6, s6, 8
	v_add3_u32 v4, v15, v7, v4
	v_sub_co_u32 v7, vcc_lo, v12, v14
	s_addc_u32 s7, s7, 0
	s_add_u32 s20, s20, 8
	v_sub_co_ci_u32_e32 v4, vcc_lo, v13, v4, vcc_lo
	s_addc_u32 s21, s21, 0
	s_waitcnt lgkmcnt(0)
	v_mul_lo_u32 v11, s0, v4
	v_mul_lo_u32 v12, s1, v7
	v_mad_u64_u32 v[8:9], null, s0, v7, v[8:9]
	v_mul_lo_u32 v4, s24, v4
	v_mul_lo_u32 v13, s25, v7
	v_mad_u64_u32 v[1:2], null, s24, v7, v[1:2]
	v_cmp_ge_u64_e64 s0, s[22:23], s[14:15]
	v_add3_u32 v9, v12, v9, v11
	v_add3_u32 v2, v13, v2, v4
	s_and_b32 vcc_lo, exec_lo, s0
	s_cbranch_vccnz .LBB0_8
; %bb.7:                                ;   in Loop: Header=BB0_2 Depth=1
	v_mov_b32_e32 v13, v6
	v_mov_b32_e32 v12, v5
	s_branch .LBB0_2
.LBB0_8:
	s_load_dwordx2 s[0:1], s[4:5], 0x28
	v_mul_hi_u32 v4, 0xaaaaaaab, v3
	v_mul_hi_u32 v10, 0x6906907, v0
	s_lshl_b64 s[4:5], s[14:15], 3
                                        ; implicit-def: $vgpr7
	s_add_u32 s2, s18, s4
	s_addc_u32 s3, s19, s5
	v_lshrrev_b32_e32 v4, 1, v4
	v_lshl_add_u32 v4, v4, 1, v4
	v_sub_nc_u32_e32 v4, v3, v4
	s_waitcnt lgkmcnt(0)
	v_cmp_gt_u64_e32 vcc_lo, s[0:1], v[5:6]
	v_cmp_le_u64_e64 s0, s[0:1], v[5:6]
                                        ; implicit-def: $vgpr3
	s_and_saveexec_b32 s1, s0
	s_xor_b32 s0, exec_lo, s1
; %bb.9:
	v_mul_u32_u24_e32 v3, 39, v10
                                        ; implicit-def: $vgpr10
                                        ; implicit-def: $vgpr8_vgpr9
	v_sub_nc_u32_e32 v3, v0, v3
                                        ; implicit-def: $vgpr0
	v_add_nc_u32_e32 v7, 39, v3
; %bb.10:
	s_or_saveexec_b32 s1, s0
	v_mul_u32_u24_e32 v21, 0x223, v4
	v_lshlrev_b32_e32 v4, 2, v21
	s_xor_b32 exec_lo, exec_lo, s1
	s_cbranch_execz .LBB0_12
; %bb.11:
	s_add_u32 s4, s16, s4
	s_addc_u32 s5, s17, s5
	s_load_dwordx2 s[4:5], s[4:5], 0x0
	s_waitcnt lgkmcnt(0)
	v_mul_lo_u32 v3, s5, v5
	v_mul_lo_u32 v7, s4, v6
	v_mad_u64_u32 v[11:12], null, s4, v5, 0
	v_add3_u32 v12, v12, v7, v3
	v_mul_u32_u24_e32 v3, 39, v10
	v_lshlrev_b64 v[7:8], 2, v[8:9]
	v_lshlrev_b64 v[10:11], 2, v[11:12]
	v_sub_nc_u32_e32 v3, v0, v3
	v_add_co_u32 v0, s0, s8, v10
	v_add_co_ci_u32_e64 v9, s0, s9, v11, s0
	v_lshlrev_b32_e32 v10, 2, v3
	v_add_co_u32 v0, s0, v0, v7
	v_add_co_ci_u32_e64 v8, s0, v9, v8, s0
	v_add_co_u32 v7, s0, v0, v10
	v_add_co_ci_u32_e64 v8, s0, 0, v8, s0
	v_add3_u32 v10, 0, v4, v10
	s_clause 0xd
	global_load_dword v0, v[7:8], off
	global_load_dword v9, v[7:8], off offset:156
	global_load_dword v11, v[7:8], off offset:312
	global_load_dword v12, v[7:8], off offset:468
	global_load_dword v13, v[7:8], off offset:624
	global_load_dword v14, v[7:8], off offset:780
	global_load_dword v15, v[7:8], off offset:936
	global_load_dword v16, v[7:8], off offset:1092
	global_load_dword v17, v[7:8], off offset:1248
	global_load_dword v18, v[7:8], off offset:1404
	global_load_dword v19, v[7:8], off offset:1560
	global_load_dword v20, v[7:8], off offset:1716
	global_load_dword v22, v[7:8], off offset:1872
	global_load_dword v8, v[7:8], off offset:2028
	v_add_nc_u32_e32 v7, 39, v3
	v_add_nc_u32_e32 v23, 0x200, v10
	;; [unrolled: 1-line block ×3, first 2 shown]
	s_waitcnt vmcnt(12)
	ds_write2_b32 v10, v0, v9 offset1:39
	s_waitcnt vmcnt(10)
	ds_write2_b32 v10, v11, v12 offset0:78 offset1:117
	s_waitcnt vmcnt(8)
	ds_write2_b32 v10, v13, v14 offset0:156 offset1:195
	;; [unrolled: 2-line block ×6, first 2 shown]
.LBB0_12:
	s_or_b32 exec_lo, exec_lo, s1
	v_lshlrev_b32_e32 v22, 2, v3
	s_load_dwordx2 s[2:3], s[2:3], 0x0
	s_waitcnt lgkmcnt(0)
	s_barrier
	buffer_gl0_inv
	v_add_nc_u32_e32 v24, 0, v22
	v_add_nc_u32_e32 v0, 0, v4
	v_mov_b32_e32 v50, 0xb770
	v_mov_b32_e32 v33, 0xba95
	;; [unrolled: 1-line block ×3, first 2 shown]
	v_add_nc_u32_e32 v23, v24, v4
	v_add_nc_u32_e32 v20, v0, v22
	v_mov_b32_e32 v32, 0xbb7b
	v_mov_b32_e32 v36, 0xb94e
	;; [unrolled: 1-line block ×3, first 2 shown]
	ds_read2_b32 v[10:11], v23 offset0:39 offset1:42
	ds_read2_b32 v[8:9], v23 offset0:81 offset1:84
	v_add_nc_u32_e32 v14, 0x400, v23
	ds_read_b32 v37, v20
	ds_read_b32 v61, v23 offset:2172
	ds_read2_b32 v[40:41], v23 offset0:123 offset1:126
	ds_read2_b32 v[12:13], v14 offset0:245 offset1:248
	;; [unrolled: 1-line block ×10, first 2 shown]
	s_waitcnt lgkmcnt(0)
	s_barrier
	buffer_gl0_inv
	s_mov_b32 s1, exec_lo
	v_pk_add_f16 v30, v12, v40
	v_pk_add_f16 v27, v40, v12 neg_lo:[0,1] neg_hi:[0,1]
	v_pk_add_f16 v29, v46, v42
	v_pk_add_f16 v19, v42, v46 neg_lo:[0,1] neg_hi:[0,1]
	v_pk_add_f16 v16, v37, v11
	v_pk_add_f16 v15, v10, v8
	v_pk_add_f16 v31, v61, v8
	v_pk_add_f16 v28, v8, v61 neg_lo:[0,1] neg_hi:[0,1]
	v_pk_add_f16 v35, v13, v11
	v_pk_add_f16 v38, v16, v9
	;; [unrolled: 4-line block ×3, first 2 shown]
	v_pk_add_f16 v11, v38, v41
	v_pk_add_f16 v8, v8, v42
	v_pk_add_f16 v38, v9, v47 neg_lo:[0,1] neg_hi:[0,1]
	v_pk_add_f16 v17, v48, v51 neg_lo:[0,1] neg_hi:[0,1]
	v_pk_add_f16 v25, v55, v53
	v_pk_add_f16 v9, v11, v43
	;; [unrolled: 1-line block ×3, first 2 shown]
	v_mul_f16_sdwa v11, v40, v50 dst_sel:DWORD dst_unused:UNUSED_PAD src0_sel:WORD_1 src1_sel:DWORD
	v_pk_add_f16 v16, v53, v55 neg_lo:[0,1] neg_hi:[0,1]
	v_pk_add_f16 v42, v52, v41
	v_pk_add_f16 v9, v9, v49
	;; [unrolled: 1-line block ×3, first 2 shown]
	v_pk_add_f16 v41, v41, v52 neg_lo:[0,1] neg_hi:[0,1]
	v_pk_mul_f16 v48, 0x3b15388b, v35
	v_mul_f16_sdwa v53, v38, v33 dst_sel:DWORD dst_unused:UNUSED_PAD src0_sel:WORD_1 src1_sel:DWORD
	v_pk_add_f16 v9, v9, v54
	v_pk_add_f16 v8, v8, v57
	;; [unrolled: 1-line block ×3, first 2 shown]
	v_pk_add_f16 v15, v57, v59 neg_lo:[0,1] neg_hi:[0,1]
	v_pk_add_f16 v44, v56, v43
	v_pk_add_f16 v9, v9, v58
	;; [unrolled: 1-line block ×3, first 2 shown]
	v_pk_add_f16 v43, v43, v56 neg_lo:[0,1] neg_hi:[0,1]
	v_mul_f16_sdwa v59, v41, v34 dst_sel:DWORD dst_unused:UNUSED_PAD src0_sel:WORD_1 src1_sel:DWORD
	v_pk_fma_f16 v50, 0xba95b770, v40, v48 op_sel:[0,0,1] op_sel_hi:[1,1,0] neg_lo:[0,1,0] neg_hi:[0,1,0]
	v_pk_add_f16 v9, v9, v60
	v_pk_add_f16 v8, v8, v55
	v_fma_f16 v55, v35, 0x3b15, -v11
	v_fmac_f16_e32 v11, 0x3b15, v35
	v_pk_fma_f16 v63, 0xba95b770, v40, v48 op_sel:[0,0,1] op_sel_hi:[1,1,0]
	v_fma_f16 v48, v39, 0x388b, -v53
	v_pk_add_f16 v8, v8, v51
	v_fmac_f16_e32 v53, 0x388b, v39
	v_pk_add_f16 v9, v9, v56
	v_add_f16_e32 v11, v37, v11
	v_pk_add_f16 v45, v49, v60 neg_lo:[0,1] neg_hi:[0,1]
	v_pk_add_f16 v8, v8, v46
	v_mul_f16_sdwa v62, v43, v32 dst_sel:DWORD dst_unused:UNUSED_PAD src0_sel:WORD_1 src1_sel:DWORD
	v_fma_f16 v51, v42, 0x2fb7, -v59
	v_fmac_f16_e32 v59, 0x2fb7, v42
	v_pk_add_f16 v9, v9, v52
	v_pk_add_f16 v8, v8, v12
	v_add_f16_e32 v11, v53, v11
	v_add_f16_e32 v12, v37, v55
	v_fma_f16 v55, v44, 0xb5ac, -v62
	v_pk_add_f16 v53, v9, v47
	v_pk_add_f16 v9, v8, v61
	v_add_f16_e32 v8, v59, v11
	v_fmac_f16_e32 v62, 0xb5ac, v44
	v_pk_add_f16 v46, v60, v49
	v_mul_f16_sdwa v56, v45, v36 dst_sel:DWORD dst_unused:UNUSED_PAD src0_sel:WORD_1 src1_sel:DWORD
	v_pk_mul_f16 v59, 0x388bb5ac, v39
	v_lshrrev_b32_e32 v57, 16, v35
	v_bfi_b32 v52, 0xffff, v63, v50
	v_pk_add_f16 v47, v54, v58 neg_lo:[0,1] neg_hi:[0,1]
	v_add_f16_e32 v8, v62, v8
	v_fma_f16 v60, v46, 0xb9fd, -v56
	v_fmac_f16_e32 v56, 0xb9fd, v46
	v_pk_add_f16 v49, v58, v54
	v_mul_f16_e32 v54, 0xba95, v40
	v_pk_fma_f16 v58, 0xbb7bba95, v38, v59 op_sel:[0,0,1] op_sel_hi:[1,1,0] neg_lo:[0,1,0] neg_hi:[0,1,0]
	v_pk_fma_f16 v59, 0xbb7bba95, v38, v59 op_sel:[0,0,1] op_sel_hi:[1,1,0]
	v_add_f16_e32 v8, v56, v8
	v_pk_add_f16 v52, v37, v52 op_sel:[1,0] op_sel_hi:[0,1]
	v_fmamk_f16 v56, v57, 0x388b, v54
	v_lshrrev_b32_e32 v64, 16, v39
	v_bfi_b32 v62, 0xffff, v59, v58
	v_mul_f16_e32 v65, 0xbb7b, v38
	v_pk_mul_f16 v66, 0x2fb7bbc4, v42
	v_add_f16_e32 v12, v48, v12
	v_add_f16_sdwa v48, v37, v56 dst_sel:DWORD dst_unused:UNUSED_PAD src0_sel:WORD_1 src1_sel:DWORD
	v_pk_add_f16 v52, v62, v52
	v_fmamk_f16 v56, v64, 0xb5ac, v65
	v_pk_fma_f16 v62, 0xb3a8bbf1, v41, v66 op_sel:[0,0,1] op_sel_hi:[1,1,0] neg_lo:[0,1,0] neg_hi:[0,1,0]
	v_pk_fma_f16 v66, 0xb3a8bbf1, v41, v66 op_sel:[0,0,1] op_sel_hi:[1,1,0]
	v_lshrrev_b32_e32 v67, 16, v42
	v_mul_f16_e32 v68, 0xb3a8, v41
	v_pk_mul_f16 v69, 0xb5acb9fd, v44
	v_add_f16_e32 v48, v56, v48
	v_add_f16_e32 v12, v51, v12
	v_bfi_b32 v51, 0xffff, v66, v62
	v_fmamk_f16 v56, v67, 0xbbc4, v68
	v_pk_fma_f16 v70, 0x394ebb7b, v43, v69 op_sel:[0,0,1] op_sel_hi:[1,1,0] neg_lo:[0,1,0] neg_hi:[0,1,0]
	v_pk_fma_f16 v69, 0x394ebb7b, v43, v69 op_sel:[0,0,1] op_sel_hi:[1,1,0]
	v_lshrrev_b32_e32 v71, 16, v44
	v_mul_f16_e32 v72, 0x394e, v43
	v_pk_mul_f16 v73, 0xb9fd2fb7, v46
	v_pk_add_f16 v52, v51, v52
	v_add_f16_e32 v48, v56, v48
	v_bfi_b32 v56, 0xffff, v69, v70
	v_fmamk_f16 v74, v71, 0xb9fd, v72
	v_pk_fma_f16 v75, 0x3bf1b94e, v45, v73 op_sel:[0,0,1] op_sel_hi:[1,1,0] neg_lo:[0,1,0] neg_hi:[0,1,0]
	v_pk_fma_f16 v51, 0x3bf1b94e, v45, v73 op_sel:[0,0,1] op_sel_hi:[1,1,0]
	v_lshrrev_b32_e32 v73, 16, v46
	v_mul_f16_e32 v76, 0x3bf1, v45
	v_pk_mul_f16 v77, 0xbbc43b15, v49
	v_pk_add_f16 v52, v56, v52
	v_add_f16_e32 v48, v74, v48
	v_bfi_b32 v56, 0xffff, v51, v75
	v_fmamk_f16 v74, v73, 0x2fb7, v76
	v_pk_fma_f16 v78, 0x3770b3a8, v47, v77 op_sel:[0,0,1] op_sel_hi:[1,1,0] neg_lo:[0,1,0] neg_hi:[0,1,0]
	v_pk_fma_f16 v79, 0x3770b3a8, v47, v77 op_sel:[0,0,1] op_sel_hi:[1,1,0]
	v_mov_b32_e32 v11, 0xb3a8
	v_lshrrev_b32_e32 v80, 16, v49
	v_mul_f16_e32 v81, 0x3770, v47
	v_add_f16_e32 v12, v55, v12
	v_pk_add_f16 v52, v56, v52
	v_add_f16_e32 v48, v74, v48
	v_bfi_b32 v55, 0xffff, v79, v78
	v_mul_f16_sdwa v74, v40, v34 dst_sel:DWORD dst_unused:UNUSED_PAD src0_sel:WORD_1 src1_sel:DWORD
	v_mul_f16_sdwa v61, v47, v11 dst_sel:DWORD dst_unused:UNUSED_PAD src0_sel:WORD_1 src1_sel:DWORD
	v_fmamk_f16 v56, v80, 0x3b15, v81
	v_add_f16_e32 v12, v60, v12
	v_pk_add_f16 v52, v55, v52
	v_fma_f16 v55, v35, 0x2fb7, -v74
	v_mul_f16_sdwa v60, v38, v11 dst_sel:DWORD dst_unused:UNUSED_PAD src0_sel:WORD_1 src1_sel:DWORD
	v_fma_f16 v79, v49, 0xbbc4, -v61
	v_fmac_f16_e32 v61, 0xbbc4, v49
	v_add_f16_e32 v48, v56, v48
	v_pk_add_f16 v56, v53, v13
	v_add_f16_e32 v13, v37, v55
	v_fma_f16 v53, v39, 0xbbc4, -v60
	v_add_f16_e32 v12, v79, v12
	v_mul_f16_e32 v55, 0xbbf1, v40
	v_add_f16_e32 v8, v61, v8
	v_alignbit_b32 v61, v48, v52, 16
	v_add_f16_e32 v48, v53, v13
	v_mul_f16_sdwa v83, v40, v32 dst_sel:DWORD dst_unused:UNUSED_PAD src0_sel:WORD_1 src1_sel:DWORD
	v_mov_b32_e32 v13, 0x394e
	v_mul_f16_e32 v84, 0xbb7b, v40
	v_pack_b32_f16 v79, v12, v52
	v_fmamk_f16 v12, v57, 0x2fb7, v55
	v_mul_f16_e32 v82, 0xb3a8, v38
	v_fma_f16 v53, v35, 0xb5ac, -v83
	v_mul_f16_sdwa v85, v38, v13 dst_sel:DWORD dst_unused:UNUSED_PAD src0_sel:WORD_1 src1_sel:DWORD
	v_fmamk_f16 v86, v57, 0xb5ac, v84
	v_mul_f16_e32 v88, 0x394e, v38
	v_add_f16_sdwa v12, v37, v12 dst_sel:DWORD dst_unused:UNUSED_PAD src0_sel:WORD_1 src1_sel:DWORD
	v_fmamk_f16 v52, v64, 0xbbc4, v82
	v_add_f16_e32 v53, v37, v53
	v_fma_f16 v89, v39, 0xb9fd, -v85
	v_add_f16_sdwa v86, v37, v86 dst_sel:DWORD dst_unused:UNUSED_PAD src0_sel:WORD_1 src1_sel:DWORD
	v_mul_f16_sdwa v87, v41, v87 dst_sel:DWORD dst_unused:UNUSED_PAD src0_sel:WORD_1 src1_sel:DWORD
	v_fmamk_f16 v90, v64, 0xb9fd, v88
	v_add_f16_e32 v52, v52, v12
	v_mov_b32_e32 v12, 0x3770
	v_add_f16_e32 v53, v89, v53
	v_fma_f16 v89, v42, 0xb5ac, -v87
	v_add_f16_e32 v86, v90, v86
	v_mul_f16_e32 v90, 0x3b7b, v41
	v_mul_f16_sdwa v91, v41, v12 dst_sel:DWORD dst_unused:UNUSED_PAD src0_sel:WORD_1 src1_sel:DWORD
	v_mul_f16_e32 v92, 0x3770, v41
	v_add_f16_e32 v48, v89, v48
	v_mul_f16_sdwa v89, v43, v12 dst_sel:DWORD dst_unused:UNUSED_PAD src0_sel:WORD_1 src1_sel:DWORD
	v_fmamk_f16 v93, v67, 0xb5ac, v90
	v_mul_f16_e32 v96, 0x3770, v43
	v_fma_f16 v94, v42, 0x3b15, -v91
	v_fmamk_f16 v95, v67, 0x3b15, v92
	v_fma_f16 v97, v44, 0x3b15, -v89
	v_add_f16_e32 v52, v93, v52
	v_fmamk_f16 v93, v71, 0x3b15, v96
	v_add_f16_e32 v53, v94, v53
	v_add_f16_e32 v86, v95, v86
	;; [unrolled: 1-line block ×3, first 2 shown]
	v_mul_f16_sdwa v94, v43, v34 dst_sel:DWORD dst_unused:UNUSED_PAD src0_sel:WORD_1 src1_sel:DWORD
	v_mul_f16_e32 v95, 0xbbf1, v43
	v_mul_f16_sdwa v97, v45, v33 dst_sel:DWORD dst_unused:UNUSED_PAD src0_sel:WORD_1 src1_sel:DWORD
	v_add_f16_e32 v93, v93, v52
	v_mov_b32_e32 v52, 0x33a8
	v_fma_f16 v98, v44, 0x2fb7, -v94
	v_fmamk_f16 v99, v71, 0x2fb7, v95
	v_fma_f16 v100, v46, 0x388b, -v97
	v_mul_f16_e32 v101, 0xba95, v45
	v_mul_f16_sdwa v102, v45, v52 dst_sel:DWORD dst_unused:UNUSED_PAD src0_sel:WORD_1 src1_sel:DWORD
	v_add_f16_e32 v98, v98, v53
	v_add_f16_e32 v86, v99, v86
	;; [unrolled: 1-line block ×3, first 2 shown]
	v_fmamk_f16 v48, v73, 0x388b, v101
	v_fma_f16 v100, v46, 0xbbc4, -v102
	v_mul_f16_e32 v103, 0x33a8, v45
	v_mul_f16_sdwa v104, v47, v36 dst_sel:DWORD dst_unused:UNUSED_PAD src0_sel:WORD_1 src1_sel:DWORD
	v_mul_f16_sdwa v107, v40, v36 dst_sel:DWORD dst_unused:UNUSED_PAD src0_sel:WORD_1 src1_sel:DWORD
	v_add_f16_e32 v93, v48, v93
	v_add_f16_e32 v98, v100, v98
	v_fmamk_f16 v100, v73, 0xbbc4, v103
	v_fma_f16 v105, v49, 0xb9fd, -v104
	v_mov_b32_e32 v48, 0x3bf1
	v_mul_f16_e32 v108, 0xb94e, v40
	v_mul_f16_e32 v110, 0x3bf1, v38
	v_add_f16_e32 v86, v100, v86
	v_add_f16_e32 v99, v105, v99
	v_fma_f16 v100, v35, 0xb9fd, -v107
	v_mul_f16_sdwa v105, v38, v48 dst_sel:DWORD dst_unused:UNUSED_PAD src0_sel:WORD_1 src1_sel:DWORD
	v_fmamk_f16 v109, v57, 0xb9fd, v108
	v_fmamk_f16 v113, v64, 0x2fb7, v110
	v_mul_f16_sdwa v114, v41, v33 dst_sel:DWORD dst_unused:UNUSED_PAD src0_sel:WORD_1 src1_sel:DWORD
	v_add_f16_e32 v100, v37, v100
	v_fma_f16 v112, v39, 0x2fb7, -v105
	v_add_f16_sdwa v109, v37, v109 dst_sel:DWORD dst_unused:UNUSED_PAD src0_sel:WORD_1 src1_sel:DWORD
	v_mul_f16_e32 v115, 0xba95, v41
	v_mul_f16_sdwa v117, v43, v52 dst_sel:DWORD dst_unused:UNUSED_PAD src0_sel:WORD_1 src1_sel:DWORD
	v_mul_f16_e32 v118, 0x33a8, v43
	v_add_f16_e32 v100, v112, v100
	v_add_f16_e32 v109, v113, v109
	v_fma_f16 v112, v42, 0x388b, -v114
	v_fmamk_f16 v113, v67, 0x388b, v115
	v_mov_b32_e32 v53, 0x3a95
	v_mul_f16_sdwa v120, v45, v12 dst_sel:DWORD dst_unused:UNUSED_PAD src0_sel:WORD_1 src1_sel:DWORD
	v_mul_f16_e32 v121, 0x3770, v45
	v_add_f16_e32 v100, v112, v100
	v_add_f16_e32 v109, v113, v109
	v_fma_f16 v112, v44, 0xbbc4, -v117
	v_fmamk_f16 v113, v71, 0xbbc4, v118
	v_mul_f16_sdwa v106, v47, v53 dst_sel:DWORD dst_unused:UNUSED_PAD src0_sel:WORD_1 src1_sel:DWORD
	v_mul_f16_e32 v116, 0x3a95, v47
	v_mul_f16_e32 v122, 0xb9fd, v80
	v_add_f16_e32 v100, v112, v100
	v_add_f16_e32 v109, v113, v109
	v_fma_f16 v112, v46, 0x3b15, -v120
	v_fmamk_f16 v113, v73, 0x3b15, v121
	v_mul_f16_sdwa v123, v47, v32 dst_sel:DWORD dst_unused:UNUSED_PAD src0_sel:WORD_1 src1_sel:DWORD
	v_mul_f16_e32 v124, 0xbb7b, v47
	v_fma_f16 v111, v49, 0x388b, -v106
	v_fmamk_f16 v119, v80, 0x388b, v116
	v_fmamk_f16 v125, v47, 0xb94e, v122
	v_add_f16_e32 v100, v112, v100
	v_add_f16_e32 v109, v113, v109
	v_fma_f16 v112, v49, 0xb5ac, -v123
	v_fmamk_f16 v113, v80, 0xb5ac, v124
	v_add_f16_e32 v98, v111, v98
	v_add_f16_e32 v86, v119, v86
	;; [unrolled: 1-line block ×5, first 2 shown]
	v_mad_u32_u24 v111, v3, 52, v0
	v_fma_f16 v54, v57, 0x388b, -v54
	v_pack_b32_f16 v86, v98, v86
	v_pack_b32_f16 v93, v99, v93
	;; [unrolled: 1-line block ×3, first 2 shown]
	ds_write2_b32 v111, v79, v61 offset0:1 offset1:2
	ds_write2_b32 v111, v93, v86 offset0:3 offset1:4
	ds_write2_b32 v111, v56, v98 offset1:5
	v_fma_f16 v56, v57, 0xb5ac, -v84
	v_pk_add_f16 v61, v37, v63 op_sel:[1,0] op_sel_hi:[0,1]
	v_add_f16_sdwa v54, v37, v54 dst_sel:DWORD dst_unused:UNUSED_PAD src0_sel:WORD_1 src1_sel:DWORD
	v_fma_f16 v63, v64, 0xb5ac, -v65
	v_fma_f16 v55, v57, 0x2fb7, -v55
	v_fmac_f16_e32 v74, 0x2fb7, v35
	v_add_f16_sdwa v56, v37, v56 dst_sel:DWORD dst_unused:UNUSED_PAD src0_sel:WORD_1 src1_sel:DWORD
	v_fma_f16 v57, v57, 0xb9fd, -v108
	v_add_f16_e32 v54, v63, v54
	v_fma_f16 v63, v64, 0xb9fd, -v88
	v_add_f16_e32 v65, v37, v74
	v_fmac_f16_e32 v60, 0xbbc4, v39
	v_add_f16_sdwa v55, v37, v55 dst_sel:DWORD dst_unused:UNUSED_PAD src0_sel:WORD_1 src1_sel:DWORD
	v_fma_f16 v74, v64, 0xbbc4, -v82
	v_fmac_f16_e32 v107, 0xb9fd, v35
	v_add_f16_e32 v56, v63, v56
	v_fma_f16 v63, v67, 0xbbc4, -v68
	v_add_f16_sdwa v50, v37, v50 dst_sel:DWORD dst_unused:UNUSED_PAD src0_sel:WORD_1 src1_sel:DWORD
	v_add_f16_e32 v60, v60, v65
	v_add_f16_e32 v55, v74, v55
	v_fma_f16 v64, v64, 0x2fb7, -v110
	v_add_f16_e32 v65, v37, v107
	v_fmac_f16_e32 v105, 0x2fb7, v39
	v_add_f16_sdwa v57, v37, v57 dst_sel:DWORD dst_unused:UNUSED_PAD src0_sel:WORD_1 src1_sel:DWORD
	v_add_f16_e32 v54, v63, v54
	v_fma_f16 v63, v67, 0xb5ac, -v90
	v_add_f16_e32 v50, v58, v50
	v_add_f16_e32 v65, v105, v65
	;; [unrolled: 1-line block ×3, first 2 shown]
	v_fma_f16 v64, v67, 0x3b15, -v92
	v_fmac_f16_e32 v114, 0x388b, v42
	v_add_f16_e32 v55, v63, v55
	v_fma_f16 v63, v67, 0x388b, -v115
	v_add_f16_e32 v50, v62, v50
	v_add_f16_e32 v56, v64, v56
	;; [unrolled: 1-line block ×3, first 2 shown]
	v_fmac_f16_e32 v117, 0xbbc4, v44
	v_add_f16_e32 v57, v63, v57
	v_fma_f16 v63, v71, 0x2fb7, -v95
	v_add_f16_e32 v50, v70, v50
	v_fmac_f16_e32 v83, 0xb5ac, v35
	v_fmac_f16_e32 v85, 0xb9fd, v39
	v_pk_mul_f16 v39, 0x3b15, v39 op_sel_hi:[0,1]
	v_add_f16_e32 v56, v63, v56
	v_add_f16_e32 v63, v117, v64
	;; [unrolled: 1-line block ×3, first 2 shown]
	v_pk_mul_f16 v64, 0xbbc4, v35 op_sel_hi:[0,1]
	v_pk_add_f16 v59, v59, v61
	v_add_f16_e32 v61, v37, v83
	v_fmac_f16_e32 v87, 0xb5ac, v42
	v_add_f16_e32 v35, v78, v50
	v_pk_fma_f16 v50, 0xb3a8, v40, v64 op_sel:[0,0,1] op_sel_hi:[0,1,0] neg_lo:[0,1,0] neg_hi:[0,1,0]
	v_pk_fma_f16 v40, 0xb3a8, v40, v64 op_sel:[0,0,1] op_sel_hi:[0,1,0]
	v_add_f16_e32 v61, v85, v61
	v_fmac_f16_e32 v91, 0x3b15, v42
	v_add_f16_e32 v60, v87, v60
	v_pk_add_f16 v50, v37, v50 op_sel:[1,0] op_sel_hi:[0,1]
	v_pk_add_f16 v37, v37, v40 op_sel:[1,0] op_sel_hi:[0,1]
	v_pk_fma_f16 v40, 0x3770, v38, v39 op_sel:[0,0,1] op_sel_hi:[0,1,0] neg_lo:[0,1,0] neg_hi:[0,1,0]
	v_pk_fma_f16 v38, 0x3770, v38, v39 op_sel:[0,0,1] op_sel_hi:[0,1,0]
	v_pk_mul_f16 v39, 0xb9fd, v42 op_sel_hi:[0,1]
	v_pk_mul_f16 v42, 0x388b, v44 op_sel_hi:[0,1]
	v_add_f16_e32 v61, v91, v61
	v_pk_add_f16 v40, v40, v50
	v_pk_add_f16 v37, v38, v37
	v_pk_fma_f16 v38, 0xb94e, v41, v39 op_sel:[0,0,1] op_sel_hi:[0,1,0] neg_lo:[0,1,0] neg_hi:[0,1,0]
	v_pk_fma_f16 v39, 0xb94e, v41, v39 op_sel:[0,0,1] op_sel_hi:[0,1,0]
	v_fma_f16 v65, v71, 0xb9fd, -v72
	v_fmac_f16_e32 v89, 0x3b15, v44
	v_fmac_f16_e32 v94, 0x2fb7, v44
	v_fma_f16 v62, v73, 0xbbc4, -v103
	v_pk_add_f16 v38, v38, v40
	v_pk_fma_f16 v40, 0x3a95, v43, v42 op_sel:[0,0,1] op_sel_hi:[0,1,0] neg_lo:[0,1,0] neg_hi:[0,1,0]
	v_pk_add_f16 v37, v39, v37
	v_pk_fma_f16 v39, 0x3a95, v43, v42 op_sel:[0,0,1] op_sel_hi:[0,1,0]
	v_pk_mul_f16 v41, 0xb5ac, v46 op_sel_hi:[0,1]
	v_add_f16_e32 v54, v65, v54
	v_add_f16_e32 v60, v89, v60
	v_fma_f16 v65, v71, 0xbbc4, -v118
	v_add_f16_e32 v61, v94, v61
	v_fma_f16 v58, v73, 0x2fb7, -v76
	v_fmac_f16_e32 v97, 0x388b, v46
	v_fmac_f16_e32 v102, 0xbbc4, v46
	v_add_f16_e32 v56, v62, v56
	v_fma_f16 v44, v80, 0x388b, -v116
	v_pk_add_f16 v38, v40, v38
	v_pk_add_f16 v37, v39, v37
	v_pk_fma_f16 v42, 0xbb7b, v45, v41 op_sel:[0,0,1] op_sel_hi:[0,1,0] neg_lo:[0,1,0] neg_hi:[0,1,0]
	v_pk_fma_f16 v41, 0xbb7b, v45, v41 op_sel:[0,0,1] op_sel_hi:[0,1,0]
	v_pk_mul_f16 v43, 0x2fb7, v49 op_sel_hi:[0,1]
	v_pk_add_f16 v59, v66, v59
	v_fma_f16 v66, v71, 0x3b15, -v96
	v_add_f16_e32 v57, v65, v57
	v_add_f16_e32 v54, v58, v54
	;; [unrolled: 1-line block ×4, first 2 shown]
	v_fmac_f16_e32 v120, 0x3b15, v46
	v_fma_f16 v61, v73, 0x3b15, -v121
	v_add_f16_e32 v56, v44, v56
	v_pk_mul_f16 v40, 0xb770, v28 op_sel_hi:[0,1]
	v_pk_add_f16 v38, v42, v38
	v_pk_fma_f16 v42, 0x3bf1, v47, v43 op_sel:[0,0,1] op_sel_hi:[0,1,0] neg_lo:[0,1,0] neg_hi:[0,1,0]
	v_pk_mul_f16 v44, 0xba95, v27 op_sel_hi:[0,1]
	v_pk_add_f16 v37, v41, v37
	v_pk_fma_f16 v43, 0x3bf1, v47, v43 op_sel:[0,0,1] op_sel_hi:[0,1,0]
	v_pk_mul_f16 v46, 0xbbf1, v19 op_sel_hi:[0,1]
	v_pk_add_f16 v59, v69, v59
	v_add_f16_e32 v55, v66, v55
	v_add_f16_e32 v57, v61, v57
	v_pk_fma_f16 v39, 0x3b15, v31, v40 op_sel:[0,0,1] op_sel_hi:[0,1,0] neg_lo:[0,0,1] neg_hi:[0,0,1]
	v_pk_fma_f16 v40, 0x3b15, v31, v40 op_sel:[0,0,1] op_sel_hi:[0,1,0]
	v_fma_f16 v45, v80, 0xb5ac, -v124
	v_pk_add_f16 v38, v42, v38
	v_pk_fma_f16 v41, 0x388b, v30, v44 op_sel:[0,0,1] op_sel_hi:[0,1,0] neg_lo:[0,0,1] neg_hi:[0,0,1]
	v_pk_fma_f16 v42, 0x388b, v30, v44 op_sel:[0,0,1] op_sel_hi:[0,1,0]
	v_pk_add_f16 v37, v43, v37
	v_pk_fma_f16 v43, 0x2fb7, v29, v46 op_sel:[0,0,1] op_sel_hi:[0,1,0] neg_lo:[0,0,1] neg_hi:[0,0,1]
	v_pk_fma_f16 v44, 0x2fb7, v29, v46 op_sel:[0,0,1] op_sel_hi:[0,1,0]
	v_mul_f16_e32 v46, 0xb94e, v47
	v_pk_mul_f16 v47, 0x3770b3a8, v47
	v_fma_f16 v62, v73, 0x388b, -v101
	v_add_f16_e32 v63, v120, v63
	v_fma_f16 v61, v80, 0x3b15, -v81
	v_fmac_f16_e32 v123, 0xb5ac, v49
	v_add_f16_e32 v57, v45, v57
	v_bfi_b32 v45, 0xffff, v46, v59
	v_add_f16_e32 v46, v10, v39
	v_bfi_b32 v47, 0xffff, v55, v47
	v_add_f16_sdwa v55, v10, v40 dst_sel:DWORD dst_unused:UNUSED_PAD src0_sel:WORD_1 src1_sel:WORD_1
	v_add_f16_e32 v54, v61, v54
	v_fmac_f16_e32 v104, 0xb9fd, v49
	v_fmac_f16_e32 v106, 0x388b, v49
	v_add_f16_e32 v61, v123, v63
	v_pk_mul_f16 v49, 0xbb7b, v17 op_sel_hi:[0,1]
	v_pack_b32_f16 v50, v62, v77
	v_add_f16_e32 v63, v41, v46
	v_add_f16_sdwa v55, v42, v55 dst_sel:DWORD dst_unused:UNUSED_PAD src0_sel:WORD_1 src1_sel:DWORD
	v_pk_add_f16 v62, v122, v45 neg_lo:[0,1] neg_hi:[0,1]
	v_pk_fma_f16 v45, 0xb5ac, v26, v49 op_sel:[0,0,1] op_sel_hi:[0,1,0] neg_lo:[0,0,1] neg_hi:[0,0,1]
	v_pk_add_f16 v51, v51, v59
	v_pk_mul_f16 v59, 0xb94e, v16 op_sel_hi:[0,1]
	v_pk_fma_f16 v46, 0xb5ac, v26, v49 op_sel:[0,0,1] op_sel_hi:[0,1,0]
	v_add_f16_e32 v49, v43, v63
	v_pk_add_f16 v63, v50, v47
	v_add_f16_sdwa v50, v44, v55 dst_sel:DWORD dst_unused:UNUSED_PAD src0_sel:WORD_1 src1_sel:DWORD
	v_pk_fma_f16 v47, 0xb9fd, v25, v59 op_sel:[0,0,1] op_sel_hi:[0,1,0] neg_lo:[0,0,1] neg_hi:[0,0,1]
	v_pk_mul_f16 v55, 0xb3a8, v15 op_sel_hi:[0,1]
	v_add_f16_e32 v64, v45, v49
	v_pk_fma_f16 v49, 0xb9fd, v25, v59 op_sel:[0,0,1] op_sel_hi:[0,1,0]
	v_add_f16_sdwa v59, v46, v50 dst_sel:DWORD dst_unused:UNUSED_PAD src0_sel:WORD_1 src1_sel:DWORD
	v_bfi_b32 v62, 0xffff, v62, v51
	v_pk_fma_f16 v50, 0xbbc4, v18, v55 op_sel:[0,0,1] op_sel_hi:[0,1,0] neg_lo:[0,0,1] neg_hi:[0,0,1]
	v_add_f16_e32 v64, v47, v64
	v_pk_fma_f16 v51, 0xbbc4, v18, v55 op_sel:[0,0,1] op_sel_hi:[0,1,0]
	v_add_f16_sdwa v55, v49, v59 dst_sel:DWORD dst_unused:UNUSED_PAD src0_sel:WORD_1 src1_sel:DWORD
	v_add_f16_e32 v60, v106, v60
	v_add_f16_e32 v58, v104, v58
	v_pk_add_f16 v62, v62, v63
	v_alignbit_b32 v59, v38, v37, 16
	v_alignbit_b32 v65, v37, v38, 16
	v_add_f16_e32 v37, v50, v64
	v_add_f16_sdwa v38, v51, v55 dst_sel:DWORD dst_unused:UNUSED_PAD src0_sel:WORD_1 src1_sel:DWORD
	v_pack_b32_f16 v55, v60, v56
	v_pack_b32_f16 v56, v61, v57
	v_alignbit_b32 v54, v54, v62, 16
	v_pack_b32_f16 v57, v58, v62
	v_pack_b32_f16 v58, v8, v35
	ds_write2_b32 v111, v65, v59 offset0:6 offset1:7
	ds_write2_b32 v111, v56, v55 offset0:8 offset1:9
	;; [unrolled: 1-line block ×3, first 2 shown]
	ds_write_b32 v111, v58 offset:48
	v_cmpx_gt_u32_e32 3, v3
	s_cbranch_execz .LBB0_14
; %bb.13:
	v_mul_f16_e32 v54, 0xb94e, v28
	v_lshrrev_b32_e32 v55, 16, v31
	v_mul_f16_e32 v57, 0x3bf1, v27
	v_lshrrev_b32_e32 v58, 16, v30
	v_mul_f16_e32 v60, 0xba95, v19
	v_lshrrev_b32_e32 v61, 16, v29
	v_fmamk_f16 v59, v55, 0xb9fd, v54
	v_mul_f16_e32 v62, 0x33a8, v17
	v_fmamk_f16 v63, v58, 0x2fb7, v57
	v_lshrrev_b32_e32 v64, 16, v26
	v_fmamk_f16 v67, v61, 0x388b, v60
	v_add_f16_sdwa v59, v10, v59 dst_sel:DWORD dst_unused:UNUSED_PAD src0_sel:WORD_1 src1_sel:DWORD
	v_mul_f16_sdwa v36, v28, v36 dst_sel:DWORD dst_unused:UNUSED_PAD src0_sel:WORD_1 src1_sel:DWORD
	v_mul_f16_sdwa v73, v19, v33 dst_sel:DWORD dst_unused:UNUSED_PAD src0_sel:WORD_1 src1_sel:DWORD
	v_fmamk_f16 v69, v64, 0xbbc4, v62
	v_mul_f16_sdwa v75, v17, v52 dst_sel:DWORD dst_unused:UNUSED_PAD src0_sel:WORD_1 src1_sel:DWORD
	v_add_f16_e32 v59, v63, v59
	v_fma_f16 v70, v31, 0xb9fd, -v36
	v_mul_f16_sdwa v78, v16, v12 dst_sel:DWORD dst_unused:UNUSED_PAD src0_sel:WORD_1 src1_sel:DWORD
	v_mul_f16_sdwa v80, v15, v32 dst_sel:DWORD dst_unused:UNUSED_PAD src0_sel:WORD_1 src1_sel:DWORD
	v_mul_f16_e32 v86, 0xb3a8, v27
	v_add_f16_e32 v59, v67, v59
	v_mul_f16_sdwa v67, v27, v48 dst_sel:DWORD dst_unused:UNUSED_PAD src0_sel:WORD_1 src1_sel:DWORD
	v_add_f16_e32 v70, v10, v70
	v_mul_f16_e32 v90, 0x3b7b, v19
	v_fmamk_f16 v89, v58, 0xbbc4, v86
	v_add_f16_e32 v59, v69, v59
	v_fma_f16 v69, v30, 0x2fb7, -v67
	v_mul_f16_e32 v91, 0x3770, v17
	v_mul_f16_e32 v65, 0x3770, v16
	v_lshrrev_b32_e32 v66, 16, v25
	v_mul_f16_e32 v92, 0xba95, v16
	v_add_f16_e32 v69, v69, v70
	v_fma_f16 v70, v29, 0x388b, -v73
	v_lshrrev_b32_e32 v68, 16, v18
	v_mul_f16_e32 v71, 0xbb7b, v28
	v_fmamk_f16 v72, v66, 0x3b15, v65
	v_mul_f16_e32 v93, 0xb94e, v15
	v_add_f16_e32 v69, v70, v69
	v_fma_f16 v70, v26, 0xbbc4, -v75
	v_fmamk_f16 v74, v55, 0xb5ac, v71
	v_add_f16_e32 v59, v72, v59
	v_mul_f16_e32 v72, 0x394e, v27
	v_mul_f16_sdwa v33, v28, v33 dst_sel:DWORD dst_unused:UNUSED_PAD src0_sel:WORD_1 src1_sel:DWORD
	v_add_f16_e32 v69, v70, v69
	v_fma_f16 v70, v25, 0x3b15, -v78
	v_mul_f16_e32 v63, 0xbb7b, v15
	v_add_f16_sdwa v74, v10, v74 dst_sel:DWORD dst_unused:UNUSED_PAD src0_sel:WORD_1 src1_sel:DWORD
	v_fmamk_f16 v76, v58, 0xb9fd, v72
	v_mul_f16_e32 v77, 0x3770, v19
	v_add_f16_e32 v69, v70, v69
	v_fma_f16 v70, v18, 0xb5ac, -v80
	v_mul_f16_sdwa v83, v28, v32 dst_sel:DWORD dst_unused:UNUSED_PAD src0_sel:WORD_1 src1_sel:DWORD
	v_mul_f16_sdwa v32, v27, v32 dst_sel:DWORD dst_unused:UNUSED_PAD src0_sel:WORD_1 src1_sel:DWORD
	v_fma_f16 v54, v55, 0xb9fd, -v54
	v_add_f16_e32 v74, v76, v74
	v_add_f16_e32 v69, v70, v69
	v_mul_f16_e32 v70, 0xbbf1, v28
	v_fmamk_f16 v76, v61, 0x3b15, v77
	v_mul_f16_e32 v79, 0xbbf1, v17
	v_fmamk_f16 v82, v68, 0xb5ac, v63
	v_fma_f16 v98, v30, 0xb5ac, -v32
	v_fmamk_f16 v85, v55, 0x2fb7, v70
	v_mul_f16_sdwa v11, v19, v11 dst_sel:DWORD dst_unused:UNUSED_PAD src0_sel:WORD_1 src1_sel:DWORD
	v_add_f16_sdwa v54, v10, v54 dst_sel:DWORD dst_unused:UNUSED_PAD src0_sel:WORD_1 src1_sel:DWORD
	v_fma_f16 v57, v58, 0x2fb7, -v57
	v_add_f16_e32 v74, v76, v74
	v_add_f16_sdwa v85, v10, v85 dst_sel:DWORD dst_unused:UNUSED_PAD src0_sel:WORD_1 src1_sel:DWORD
	v_fmamk_f16 v76, v64, 0x2fb7, v79
	v_mul_f16_e32 v81, 0x33a8, v16
	v_add_f16_e32 v59, v82, v59
	v_mul_f16_sdwa v82, v27, v13 dst_sel:DWORD dst_unused:UNUSED_PAD src0_sel:WORD_1 src1_sel:DWORD
	v_add_f16_e32 v85, v89, v85
	v_fmamk_f16 v89, v61, 0xb5ac, v90
	v_mul_f16_sdwa v13, v17, v13 dst_sel:DWORD dst_unused:UNUSED_PAD src0_sel:WORD_1 src1_sel:DWORD
	v_add_f16_e32 v54, v57, v54
	v_fma_f16 v57, v61, 0x388b, -v60
	v_add_f16_e32 v74, v76, v74
	v_add_f16_e32 v85, v89, v85
	v_fmamk_f16 v89, v64, 0x3b15, v91
	v_fmamk_f16 v76, v66, 0xbbc4, v81
	v_mul_f16_sdwa v48, v16, v48 dst_sel:DWORD dst_unused:UNUSED_PAD src0_sel:WORD_1 src1_sel:DWORD
	v_add_f16_e32 v54, v57, v54
	v_fma_f16 v57, v64, 0xbbc4, -v62
	v_add_f16_e32 v85, v89, v85
	v_fmamk_f16 v89, v66, 0x388b, v92
	v_add_f16_e32 v74, v76, v74
	v_fma_f16 v76, v31, 0xb5ac, -v83
	v_mul_f16_sdwa v88, v19, v12 dst_sel:DWORD dst_unused:UNUSED_PAD src0_sel:WORD_1 src1_sel:DWORD
	v_fma_f16 v62, v25, 0x2fb7, -v48
	v_add_f16_e32 v85, v89, v85
	v_fmamk_f16 v89, v68, 0xb9fd, v93
	v_mul_f16_sdwa v12, v15, v12 dst_sel:DWORD dst_unused:UNUSED_PAD src0_sel:WORD_1 src1_sel:DWORD
	v_add_f16_e32 v54, v57, v54
	v_fma_f16 v57, v66, 0x3b15, -v65
	v_add_f16_e32 v76, v10, v76
	v_add_f16_e32 v85, v89, v85
	v_fma_f16 v89, v31, 0x388b, -v33
	v_fma_f16 v87, v30, 0xb9fd, -v82
	v_add_f16_e32 v54, v57, v54
	v_fma_f16 v57, v68, 0xb5ac, -v63
	v_fmac_f16_e32 v83, 0xb5ac, v31
	v_add_f16_e32 v89, v10, v89
	v_add_f16_e32 v76, v87, v76
	v_fma_f16 v87, v29, 0x3b15, -v88
	v_mul_f16_sdwa v34, v17, v34 dst_sel:DWORD dst_unused:UNUSED_PAD src0_sel:WORD_1 src1_sel:DWORD
	v_add_f16_e32 v54, v57, v54
	v_add_f16_e32 v89, v98, v89
	v_fma_f16 v98, v29, 0xbbc4, -v11
	v_fma_f16 v57, v55, 0x2fb7, -v70
	v_fmac_f16_e32 v82, 0xb9fd, v30
	v_add_f16_e32 v76, v87, v76
	v_fma_f16 v87, v26, 0x2fb7, -v34
	v_add_f16_e32 v89, v98, v89
	v_fma_f16 v98, v26, 0xb9fd, -v13
	v_mul_f16_sdwa v52, v16, v52 dst_sel:DWORD dst_unused:UNUSED_PAD src0_sel:WORD_1 src1_sel:DWORD
	v_add_f16_sdwa v57, v10, v57 dst_sel:DWORD dst_unused:UNUSED_PAD src0_sel:WORD_1 src1_sel:DWORD
	v_fma_f16 v63, v58, 0xbbc4, -v86
	v_fmac_f16_e32 v88, 0x3b15, v29
	v_add_f16_e32 v60, v98, v89
	v_add_f16_e32 v76, v87, v76
	v_fma_f16 v87, v25, 0xbbc4, -v52
	v_mul_f16_sdwa v53, v15, v53 dst_sel:DWORD dst_unused:UNUSED_PAD src0_sel:WORD_1 src1_sel:DWORD
	v_fma_f16 v55, v55, 0xb5ac, -v71
	v_add_f16_e32 v60, v62, v60
	v_fma_f16 v62, v18, 0x3b15, -v12
	v_add_f16_e32 v57, v63, v57
	v_fma_f16 v63, v61, 0xb5ac, -v90
	v_fmac_f16_e32 v34, 0x2fb7, v26
	v_mul_f16_e32 v84, 0x388b, v68
	v_add_f16_e32 v60, v62, v60
	v_add_f16_e32 v62, v10, v83
	;; [unrolled: 1-line block ×3, first 2 shown]
	v_fma_f16 v87, v18, 0x388b, -v53
	v_add_f16_sdwa v55, v10, v55 dst_sel:DWORD dst_unused:UNUSED_PAD src0_sel:WORD_1 src1_sel:DWORD
	v_fma_f16 v58, v58, 0xb9fd, -v72
	v_add_f16_e32 v62, v82, v62
	v_add_f16_e32 v57, v63, v57
	v_fma_f16 v63, v64, 0x3b15, -v91
	v_fmac_f16_e32 v52, 0xbbc4, v25
	v_fmac_f16_e32 v33, 0x388b, v31
	v_add_f16_e32 v62, v88, v62
	v_fmamk_f16 v94, v15, 0x3a95, v84
	v_add_f16_e32 v76, v87, v76
	v_pk_mul_f16 v87, 0x388b2fb7, v31
	v_add_f16_e32 v55, v58, v55
	v_add_f16_e32 v34, v34, v62
	v_fma_f16 v58, v61, 0x3b15, -v77
	v_add_f16_e32 v57, v63, v57
	v_fma_f16 v61, v66, 0x388b, -v92
	v_fmac_f16_e32 v53, 0x388b, v18
	v_add_f16_e32 v34, v52, v34
	v_add_f16_e32 v33, v10, v33
	v_fmac_f16_e32 v32, 0xb5ac, v30
	v_alignbit_b32 v56, v10, v10, 16
	v_add_f16_e32 v74, v94, v74
	v_pk_mul_f16 v94, 0xb5acbbc4, v30
	v_add_f16_e32 v52, v61, v57
	v_fma_f16 v57, v68, 0xb9fd, -v93
	v_pk_fma_f16 v61, 0xbbf1ba95, v28, v87 op_sel:[0,0,1] op_sel_hi:[1,1,0]
	v_add_f16_e32 v34, v53, v34
	v_pk_fma_f16 v53, 0xbbf1ba95, v28, v87 op_sel:[0,0,1] op_sel_hi:[1,1,0] neg_lo:[0,1,0] neg_hi:[0,1,0]
	v_add_f16_e32 v32, v32, v33
	v_fmac_f16_e32 v11, 0xbbc4, v29
	v_pk_mul_f16 v96, 0xbbc4b5ac, v29
	v_fmac_f16_e32 v36, 0xb9fd, v31
	v_add_f16_e32 v55, v58, v55
	v_fma_f16 v58, v64, 0x2fb7, -v79
	v_add_f16_e32 v52, v57, v52
	v_pk_add_f16 v57, v56, v61
	v_pk_fma_f16 v62, 0xb3a8bb7b, v27, v94 op_sel:[0,0,1] op_sel_hi:[1,1,0]
	v_pk_fma_f16 v63, 0xb3a8bb7b, v27, v94 op_sel:[0,0,1] op_sel_hi:[1,1,0] neg_lo:[0,1,0] neg_hi:[0,1,0]
	v_add_f16_e32 v64, v56, v53
	v_add_f16_e32 v11, v11, v32
	v_fmac_f16_e32 v13, 0xb9fd, v26
	v_bfi_b32 v53, 0xffff, v61, v53
	v_pk_mul_f16 v97, 0xb9fd3b15, v26
	v_add_f16_e32 v36, v10, v36
	v_fmac_f16_e32 v67, 0x2fb7, v30
	v_add_f16_e32 v55, v58, v55
	v_fma_f16 v58, v66, 0xbbc4, -v81
	v_pk_add_f16 v57, v62, v57
	v_pk_fma_f16 v65, 0x3b7bb3a8, v19, v96 op_sel:[0,0,1] op_sel_hi:[1,1,0]
	v_pk_fma_f16 v66, 0x3b7bb3a8, v19, v96 op_sel:[0,0,1] op_sel_hi:[1,1,0] neg_lo:[0,1,0] neg_hi:[0,1,0]
	v_add_f16_e32 v64, v63, v64
	v_add_f16_e32 v11, v13, v11
	v_fmac_f16_e32 v48, 0x2fb7, v25
	v_pk_add_f16 v53, v56, v53
	v_bfi_b32 v62, 0xffff, v62, v63
	v_pk_mul_f16 v99, 0x2fb7388b, v25
	v_add_f16_e32 v36, v67, v36
	v_pk_add_f16 v33, v65, v57
	v_pk_fma_f16 v57, 0x3770394e, v17, v97 op_sel:[0,0,1] op_sel_hi:[1,1,0]
	v_pk_fma_f16 v67, 0x3770394e, v17, v97 op_sel:[0,0,1] op_sel_hi:[1,1,0] neg_lo:[0,1,0] neg_hi:[0,1,0]
	v_add_f16_e32 v64, v66, v64
	v_add_f16_e32 v11, v48, v11
	v_fmac_f16_e32 v12, 0x3b15, v18
	v_pk_add_f16 v53, v62, v53
	v_bfi_b32 v62, 0xffff, v65, v66
	v_pk_mul_f16 v100, 0x3b15b9fd, v18
	v_pk_add_f16 v32, v57, v33
	v_pk_fma_f16 v33, 0xba953bf1, v16, v99 op_sel:[0,0,1] op_sel_hi:[1,1,0] neg_lo:[0,1,0] neg_hi:[0,1,0]
	v_add_f16_e32 v64, v67, v64
	v_pk_fma_f16 v48, 0xba953bf1, v16, v99 op_sel:[0,0,1] op_sel_hi:[1,1,0]
	v_add_f16_e32 v11, v12, v11
	v_bfi_b32 v12, 0xffff, v40, v39
	v_bfi_b32 v39, 0xffff, v42, v41
	v_pk_add_f16 v41, v62, v53
	v_bfi_b32 v42, 0xffff, v57, v67
	v_pk_fma_f16 v13, 0xb94e3770, v15, v100 op_sel:[0,0,1] op_sel_hi:[1,1,0] neg_lo:[0,1,0] neg_hi:[0,1,0]
	v_add_f16_e32 v61, v33, v64
	v_bfi_b32 v33, 0xffff, v48, v33
	v_pk_mul_f16 v31, 0xbbc4, v31 op_sel_hi:[0,1]
	v_pk_add_f16 v41, v42, v41
	v_pk_fma_f16 v42, 0xb94e3770, v15, v100 op_sel:[0,0,1] op_sel_hi:[1,1,0]
	v_add_f16_e32 v61, v13, v61
	v_pk_mul_f16 v30, 0x3b15, v30 op_sel_hi:[0,1]
	v_fmac_f16_e32 v73, 0x388b, v29
	v_pk_add_f16 v33, v33, v41
	v_bfi_b32 v13, 0xffff, v42, v13
	v_pk_fma_f16 v41, 0xb3a8, v28, v31 op_sel:[0,0,1] op_sel_hi:[0,1,0] neg_lo:[0,1,0] neg_hi:[0,1,0]
	v_pk_fma_f16 v28, 0xb3a8, v28, v31 op_sel:[0,0,1] op_sel_hi:[0,1,0]
	v_pk_mul_f16 v29, 0xb9fd, v29 op_sel_hi:[0,1]
	v_fmac_f16_e32 v75, 0xbbc4, v26
	v_pk_add_f16 v13, v13, v33
	v_pk_add_f16 v31, v56, v41
	v_pk_fma_f16 v33, 0x3770, v27, v30 op_sel:[0,0,1] op_sel_hi:[0,1,0] neg_lo:[0,1,0] neg_hi:[0,1,0]
	v_pk_add_f16 v28, v56, v28
	v_pk_fma_f16 v27, 0x3770, v27, v30 op_sel:[0,0,1] op_sel_hi:[0,1,0]
	v_bfi_b32 v40, 0xffff, v44, v43
	v_bfi_b32 v43, 0xffff, v46, v45
	v_mul_i32_i24_e32 v46, 52, v7
	v_pk_add_f16 v31, v33, v31
	v_pk_fma_f16 v33, 0xb94e, v19, v29 op_sel:[0,0,1] op_sel_hi:[0,1,0] neg_lo:[0,1,0] neg_hi:[0,1,0]
	v_pk_mul_f16 v26, 0x388b, v26 op_sel_hi:[0,1]
	v_pk_add_f16 v27, v27, v28
	v_pk_fma_f16 v19, 0xb94e, v19, v29 op_sel:[0,0,1] op_sel_hi:[0,1,0]
	v_mul_f16_e32 v95, 0x3a95, v15
	v_fmac_f16_e32 v78, 0x3b15, v25
	v_add3_u32 v46, 0, v46, v4
	v_alignbit_b32 v30, v85, v13, 16
	v_pack_b32_f16 v13, v60, v13
	v_pk_add_f16 v28, v33, v31
	v_pk_fma_f16 v29, 0x3a95, v17, v26 op_sel:[0,0,1] op_sel_hi:[0,1,0] neg_lo:[0,1,0] neg_hi:[0,1,0]
	v_pk_mul_f16 v25, 0xb5ac, v25 op_sel_hi:[0,1]
	v_pk_add_f16 v19, v19, v27
	v_pk_fma_f16 v17, 0x3a95, v17, v26 op_sel:[0,0,1] op_sel_hi:[0,1,0]
	v_pk_add_f16 v10, v10, v12
	v_add_f16_e32 v36, v73, v36
	v_pk_mul_f16 v101, 0xb94e3770, v15
	v_fmac_f16_e32 v80, 0xb5ac, v18
	ds_write2_b32 v46, v13, v30 offset0:2 offset1:3
	v_pk_add_f16 v13, v29, v28
	v_pk_fma_f16 v26, 0xbb7b, v16, v25 op_sel:[0,0,1] op_sel_hi:[0,1,0] neg_lo:[0,1,0] neg_hi:[0,1,0]
	v_pk_mul_f16 v18, 0x2fb7, v18 op_sel_hi:[0,1]
	v_pk_add_f16 v17, v17, v19
	v_pk_fma_f16 v16, 0xbb7b, v16, v25 op_sel:[0,0,1] op_sel_hi:[0,1,0]
	v_bfi_b32 v19, 0xffff, v95, v32
	v_pk_add_f16 v10, v39, v10
	v_add_f16_e32 v36, v75, v36
	v_pk_add_f16 v12, v26, v13
	v_pk_fma_f16 v13, 0x3bf1, v15, v18 op_sel:[0,0,1] op_sel_hi:[0,1,0] neg_lo:[0,1,0] neg_hi:[0,1,0]
	v_pk_add_f16 v16, v16, v17
	v_pk_add_f16 v17, v84, v19 neg_lo:[0,1] neg_hi:[0,1]
	v_pk_add_f16 v19, v48, v32
	v_pack_b32_f16 v25, v58, v100
	v_bfi_b32 v26, 0xffff, v55, v101
	v_pk_add_f16 v10, v40, v10
	v_pk_fma_f16 v15, 0x3bf1, v15, v18 op_sel:[0,0,1] op_sel_hi:[0,1,0]
	v_add_f16_e32 v36, v78, v36
	v_pk_add_f16 v12, v13, v12
	v_bfi_b32 v13, 0xffff, v17, v19
	v_pk_add_f16 v17, v25, v26
	v_bfi_b32 v44, 0xffff, v49, v47
	v_pk_add_f16 v10, v43, v10
	v_pk_add_f16 v15, v15, v16
	v_add_f16_e32 v36, v80, v36
	v_pk_add_f16 v13, v13, v17
	v_bfi_b32 v45, 0xffff, v51, v50
	v_pk_add_f16 v10, v44, v10
	v_perm_b32 v47, v38, v37, 0x5040100
	v_pack_b32_f16 v16, v69, v59
	v_pack_b32_f16 v18, v76, v74
	v_alignbit_b32 v17, v12, v15, 16
	v_alignbit_b32 v12, v15, v12, 16
	v_pack_b32_f16 v15, v36, v54
	v_alignbit_b32 v19, v52, v13, 16
	v_pack_b32_f16 v13, v34, v13
	v_pk_add_f16 v10, v45, v10
	v_pack_b32_f16 v11, v11, v61
	ds_write2_b32 v46, v9, v47 offset1:1
	ds_write2_b32 v46, v18, v16 offset0:4 offset1:5
	ds_write2_b32 v46, v12, v17 offset0:6 offset1:7
	ds_write_b32 v46, v15 offset:32
	ds_write2_b32 v46, v13, v19 offset0:9 offset1:10
	ds_write2_b32 v46, v11, v10 offset0:11 offset1:12
.LBB0_14:
	s_or_b32 exec_lo, exec_lo, s1
	v_lshlrev_b32_e32 v10, 2, v7
	s_waitcnt lgkmcnt(0)
	s_barrier
	buffer_gl0_inv
	ds_read2_b32 v[16:17], v23 offset0:182 offset1:221
	v_add3_u32 v25, 0, v10, v4
	ds_read2_b32 v[18:19], v14 offset0:108 offset1:147
	ds_read2_b32 v[10:11], v23 offset0:78 offset1:117
	;; [unrolled: 1-line block ×3, first 2 shown]
	ds_read_b32 v27, v20
	ds_read_b32 v26, v25
	ds_read2_b32 v[14:15], v14 offset0:186 offset1:225
	v_cmp_gt_u32_e64 s0, 26, v3
	s_and_saveexec_b32 s1, s0
	s_cbranch_execz .LBB0_16
; %bb.15:
	v_add_nc_u32_e32 v8, 0x200, v23
	ds_read2_b32 v[8:9], v8 offset0:28 offset1:210
	ds_read_b32 v37, v23 offset:2080
	s_waitcnt lgkmcnt(1)
	v_lshrrev_b32_e32 v35, 16, v8
	s_waitcnt lgkmcnt(0)
	v_lshrrev_b32_e32 v38, 16, v37
.LBB0_16:
	s_or_b32 exec_lo, exec_lo, s1
	v_and_b32_e32 v28, 0xff, v3
	v_and_b32_e32 v29, 0xff, v7
	v_add_nc_u16 v36, v3, 0x4e
	v_add_nc_u16 v39, v3, 0x75
	s_waitcnt lgkmcnt(6)
	v_lshrrev_b32_e32 v53, 16, v16
	v_mul_lo_u16 v28, 0x4f, v28
	v_mul_lo_u16 v29, 0x4f, v29
	v_and_b32_e32 v31, 0xff, v36
	v_and_b32_e32 v32, 0xff, v39
	s_waitcnt lgkmcnt(5)
	v_lshrrev_b32_e32 v54, 16, v18
	v_lshrrev_b16 v34, 10, v28
	v_lshrrev_b16 v29, 10, v29
	v_mov_b32_e32 v28, 3
	v_lshrrev_b32_e32 v55, 16, v17
	v_lshrrev_b32_e32 v56, 16, v19
	v_mul_lo_u16 v30, v34, 13
	v_mul_lo_u16 v33, v29, 13
	v_and_b32_e32 v34, 0xffff, v34
	v_and_b32_e32 v57, 0xffff, v29
	v_mov_b32_e32 v29, 2
	v_sub_nc_u16 v43, v3, v30
	v_mul_lo_u16 v30, 0x4f, v31
	v_mul_lo_u16 v31, 0x4f, v32
	v_sub_nc_u16 v44, v7, v33
	v_mad_u32_u24 v34, 0x9c, v34, 0
	v_lshlrev_b32_sdwa v32, v28, v43 dst_sel:DWORD dst_unused:UNUSED_PAD src0_sel:DWORD src1_sel:BYTE_0
	v_lshrrev_b16 v45, 10, v30
	v_lshrrev_b16 v46, 10, v31
	v_lshlrev_b32_sdwa v33, v28, v44 dst_sel:DWORD dst_unused:UNUSED_PAD src0_sel:DWORD src1_sel:BYTE_0
	v_mad_u32_u24 v57, 0x9c, v57, 0
	global_load_dwordx2 v[30:31], v32, s[12:13]
	v_mul_lo_u16 v40, v45, 13
	v_mul_lo_u16 v41, v46, 13
	global_load_dwordx2 v[32:33], v33, s[12:13]
	v_and_b32_e32 v45, 0xffff, v45
	v_and_b32_e32 v46, 0xffff, v46
	v_sub_nc_u16 v36, v36, v40
	v_sub_nc_u16 v47, v39, v41
	v_lshlrev_b32_sdwa v43, v29, v43 dst_sel:DWORD dst_unused:UNUSED_PAD src0_sel:DWORD src1_sel:BYTE_0
	v_lshlrev_b32_sdwa v44, v29, v44 dst_sel:DWORD dst_unused:UNUSED_PAD src0_sel:DWORD src1_sel:BYTE_0
	v_mad_u32_u24 v45, 0x9c, v45, 0
	v_lshlrev_b32_sdwa v39, v28, v36 dst_sel:DWORD dst_unused:UNUSED_PAD src0_sel:DWORD src1_sel:BYTE_0
	v_lshlrev_b32_sdwa v41, v28, v47 dst_sel:DWORD dst_unused:UNUSED_PAD src0_sel:DWORD src1_sel:BYTE_0
	v_mad_u32_u24 v46, 0x9c, v46, 0
	v_add3_u32 v34, v34, v43, v4
	s_clause 0x1
	global_load_dwordx2 v[39:40], v39, s[12:13]
	global_load_dwordx2 v[41:42], v41, s[12:13]
	v_add3_u32 v43, v57, v44, v4
	v_lshlrev_b32_sdwa v36, v29, v36 dst_sel:DWORD dst_unused:UNUSED_PAD src0_sel:DWORD src1_sel:BYTE_0
	v_lshlrev_b32_sdwa v44, v29, v47 dst_sel:DWORD dst_unused:UNUSED_PAD src0_sel:DWORD src1_sel:BYTE_0
	s_waitcnt lgkmcnt(0)
	v_lshrrev_b32_e32 v52, 16, v15
	v_lshrrev_b32_e32 v58, 16, v12
	;; [unrolled: 1-line block ×4, first 2 shown]
	v_add3_u32 v36, v45, v36, v4
	v_add3_u32 v44, v46, v44, v4
	v_lshrrev_b32_e32 v48, 16, v27
	v_lshrrev_b32_e32 v49, 16, v26
	;; [unrolled: 1-line block ×4, first 2 shown]
	s_waitcnt vmcnt(0)
	s_barrier
	buffer_gl0_inv
	v_mul_f16_sdwa v45, v30, v53 dst_sel:DWORD dst_unused:UNUSED_PAD src0_sel:WORD_1 src1_sel:DWORD
	v_mul_f16_sdwa v46, v30, v16 dst_sel:DWORD dst_unused:UNUSED_PAD src0_sel:WORD_1 src1_sel:DWORD
	;; [unrolled: 1-line block ×8, first 2 shown]
	v_fma_f16 v16, v30, v16, -v45
	v_fmac_f16_e32 v46, v30, v53
	v_fma_f16 v18, v31, v18, -v47
	v_fmac_f16_e32 v57, v31, v54
	;; [unrolled: 2-line block ×4, first 2 shown]
	v_mul_f16_sdwa v30, v39, v58 dst_sel:DWORD dst_unused:UNUSED_PAD src0_sel:WORD_1 src1_sel:DWORD
	v_mul_f16_sdwa v31, v39, v12 dst_sel:DWORD dst_unused:UNUSED_PAD src0_sel:WORD_1 src1_sel:DWORD
	;; [unrolled: 1-line block ×6, first 2 shown]
	v_mul_f16_sdwa v53, v52, v42 dst_sel:DWORD dst_unused:UNUSED_PAD src0_sel:DWORD src1_sel:WORD_1
	v_mul_f16_sdwa v54, v15, v42 dst_sel:DWORD dst_unused:UNUSED_PAD src0_sel:DWORD src1_sel:WORD_1
	v_fma_f16 v12, v39, v12, -v30
	v_fmac_f16_e32 v31, v39, v58
	v_fma_f16 v14, v40, v14, -v32
	v_fmac_f16_e32 v33, v40, v59
	;; [unrolled: 2-line block ×4, first 2 shown]
	v_add_f16_e32 v32, v16, v18
	v_add_f16_e32 v41, v46, v57
	v_add_f16_e32 v42, v26, v17
	v_add_f16_e32 v45, v17, v19
	v_add_f16_e32 v53, v62, v64
	v_add_f16_e32 v30, v27, v16
	v_sub_f16_e32 v39, v46, v57
	v_add_f16_e32 v40, v48, v46
	v_sub_f16_e32 v16, v16, v18
	v_add_f16_e32 v52, v49, v62
	v_sub_f16_e32 v17, v17, v19
	v_fmac_f16_e32 v27, -0.5, v32
	v_fmac_f16_e32 v48, -0.5, v41
	v_add_f16_e32 v19, v42, v19
	v_fmac_f16_e32 v26, -0.5, v45
	v_add_f16_e32 v41, v12, v14
	v_sub_f16_e32 v42, v31, v33
	v_add_f16_e32 v45, v50, v31
	v_add_f16_e32 v31, v31, v33
	v_sub_f16_e32 v55, v47, v54
	v_add_f16_e32 v56, v51, v47
	v_add_f16_e32 v47, v47, v54
	v_sub_f16_e32 v46, v62, v64
	v_fmac_f16_e32 v49, -0.5, v53
	v_add_f16_e32 v53, v13, v15
	v_add_f16_e32 v18, v30, v18
	;; [unrolled: 1-line block ×5, first 2 shown]
	v_sub_f16_e32 v12, v12, v14
	v_add_f16_e32 v52, v11, v13
	v_sub_f16_e32 v13, v13, v15
	v_fmamk_f16 v57, v39, 0x3aee, v27
	v_fmac_f16_e32 v27, 0xbaee, v39
	v_fmamk_f16 v39, v16, 0xbaee, v48
	v_fma_f16 v10, -0.5, v41, v10
	v_fmac_f16_e32 v50, -0.5, v31
	v_fmac_f16_e32 v51, -0.5, v47
	v_fmac_f16_e32 v48, 0x3aee, v16
	v_fmamk_f16 v16, v46, 0x3aee, v26
	v_fmac_f16_e32 v26, 0xbaee, v46
	v_fmamk_f16 v46, v17, 0xbaee, v49
	v_fmac_f16_e32 v11, -0.5, v53
	v_fmac_f16_e32 v49, 0x3aee, v17
	v_add_f16_e32 v14, v40, v14
	v_add_f16_e32 v17, v45, v33
	v_pack_b32_f16 v18, v18, v30
	v_pack_b32_f16 v19, v19, v32
	v_fmamk_f16 v30, v42, 0x3aee, v10
	v_fmamk_f16 v32, v12, 0xbaee, v50
	;; [unrolled: 1-line block ×3, first 2 shown]
	v_fmac_f16_e32 v51, 0x3aee, v13
	v_pack_b32_f16 v13, v57, v39
	v_fmac_f16_e32 v10, 0xbaee, v42
	v_fmac_f16_e32 v50, 0x3aee, v12
	v_pack_b32_f16 v27, v27, v48
	v_add_f16_e32 v15, v52, v15
	v_add_f16_e32 v31, v56, v54
	v_fmamk_f16 v12, v55, 0x3aee, v11
	v_pack_b32_f16 v16, v16, v46
	v_fmac_f16_e32 v11, 0xbaee, v55
	v_pack_b32_f16 v26, v26, v49
	v_pack_b32_f16 v14, v14, v17
	ds_write2_b32 v34, v18, v13 offset1:13
	ds_write_b32 v34, v27 offset:104
	ds_write2_b32 v43, v19, v16 offset1:13
	v_pack_b32_f16 v13, v30, v32
	v_pack_b32_f16 v10, v10, v50
	v_pack_b32_f16 v15, v15, v31
	v_pack_b32_f16 v12, v12, v33
	v_pack_b32_f16 v11, v11, v51
	ds_write_b32 v43, v26 offset:104
	ds_write2_b32 v36, v14, v13 offset1:13
	ds_write_b32 v36, v10 offset:104
	ds_write2_b32 v44, v15, v12 offset1:13
	ds_write_b32 v44, v11 offset:104
	s_and_saveexec_b32 s1, s0
	s_cbranch_execz .LBB0_18
; %bb.17:
	v_add_nc_u16 v10, v3, 0x9c
	v_lshrrev_b32_e32 v14, 16, v9
	v_and_b32_e32 v11, 0xff, v10
	v_mul_lo_u16 v11, 0x4f, v11
	v_lshrrev_b16 v12, 10, v11
	v_mul_lo_u16 v11, v12, 13
	v_and_b32_e32 v12, 0xffff, v12
	v_sub_nc_u16 v13, v10, v11
	v_lshlrev_b32_sdwa v10, v28, v13 dst_sel:DWORD dst_unused:UNUSED_PAD src0_sel:DWORD src1_sel:BYTE_0
	v_lshlrev_b32_sdwa v13, v29, v13 dst_sel:DWORD dst_unused:UNUSED_PAD src0_sel:DWORD src1_sel:BYTE_0
	global_load_dwordx2 v[10:11], v10, s[12:13]
	s_waitcnt vmcnt(0)
	v_mul_f16_sdwa v15, v14, v10 dst_sel:DWORD dst_unused:UNUSED_PAD src0_sel:DWORD src1_sel:WORD_1
	v_mul_f16_sdwa v16, v38, v11 dst_sel:DWORD dst_unused:UNUSED_PAD src0_sel:DWORD src1_sel:WORD_1
	;; [unrolled: 1-line block ×4, first 2 shown]
	v_fma_f16 v9, v9, v10, -v15
	v_fma_f16 v15, v37, v11, -v16
	v_fmac_f16_e32 v17, v14, v10
	v_fmac_f16_e32 v18, v38, v11
	v_mad_u32_u24 v10, 0x9c, v12, 0
	v_add_f16_e32 v14, v9, v15
	v_sub_f16_e32 v11, v9, v15
	v_add_f16_e32 v12, v17, v18
	v_sub_f16_e32 v16, v17, v18
	v_add_f16_e32 v17, v35, v17
	v_add_f16_e32 v9, v8, v9
	v_fma_f16 v8, -0.5, v14, v8
	v_fma_f16 v12, -0.5, v12, v35
	v_add3_u32 v4, v10, v13, v4
	v_add_f16_e32 v14, v17, v18
	v_add_f16_e32 v9, v9, v15
	v_fmamk_f16 v17, v16, 0xbaee, v8
	v_fmamk_f16 v15, v11, 0x3aee, v12
	v_fmac_f16_e32 v12, 0xbaee, v11
	v_fmac_f16_e32 v8, 0x3aee, v16
	v_pack_b32_f16 v9, v9, v14
	v_pack_b32_f16 v10, v17, v15
	;; [unrolled: 1-line block ×3, first 2 shown]
	ds_write2_b32 v4, v9, v8 offset1:13
	ds_write_b32 v4, v10 offset:104
.LBB0_18:
	s_or_b32 exec_lo, exec_lo, s1
	v_mul_u32_u24_e32 v4, 6, v3
	s_waitcnt lgkmcnt(0)
	s_barrier
	buffer_gl0_inv
	v_add_nc_u32_e32 v14, 0x200, v23
	v_lshlrev_b32_e32 v4, 2, v4
	v_add_nc_u32_e32 v13, 0x400, v23
	s_add_u32 s1, s12, 0x854
	s_addc_u32 s4, s13, 0
	s_mov_b32 s5, exec_lo
	s_clause 0x1
	global_load_dwordx4 v[15:18], v4, s[12:13] offset:104
	global_load_dwordx2 v[26:27], v4, s[12:13] offset:120
	ds_read2_b32 v[28:29], v23 offset0:78 offset1:117
	ds_read2_b32 v[30:31], v23 offset0:156 offset1:195
	ds_read_b32 v19, v20
	ds_read_b32 v44, v25
	ds_read2_b32 v[32:33], v14 offset0:106 offset1:145
	ds_read2_b32 v[34:35], v13 offset0:56 offset1:95
	;; [unrolled: 1-line block ×4, first 2 shown]
	v_mov_b32_e32 v4, 0
	s_waitcnt vmcnt(0) lgkmcnt(0)
	s_barrier
	buffer_gl0_inv
	v_mov_b32_e32 v8, v4
	v_lshlrev_b64 v[9:10], 2, v[3:4]
	v_lshlrev_b64 v[11:12], 2, v[7:8]
	v_add_co_u32 v40, s0, s12, v9
	v_add_co_ci_u32_e64 v41, s0, s13, v10, s0
	v_lshrrev_b32_e32 v45, 16, v28
	v_lshrrev_b32_e32 v46, 16, v30
	;; [unrolled: 1-line block ×12, first 2 shown]
	v_add_co_u32 v42, s0, s12, v11
	v_add_co_ci_u32_e64 v43, s0, s13, v12, s0
	v_mul_f16_sdwa v55, v15, v45 dst_sel:DWORD dst_unused:UNUSED_PAD src0_sel:WORD_1 src1_sel:DWORD
	v_mul_f16_sdwa v56, v15, v28 dst_sel:DWORD dst_unused:UNUSED_PAD src0_sel:WORD_1 src1_sel:DWORD
	;; [unrolled: 1-line block ×4, first 2 shown]
	v_mul_f16_sdwa v63, v47, v26 dst_sel:DWORD dst_unused:UNUSED_PAD src0_sel:DWORD src1_sel:WORD_1
	v_mul_f16_sdwa v64, v36, v26 dst_sel:DWORD dst_unused:UNUSED_PAD src0_sel:DWORD src1_sel:WORD_1
	;; [unrolled: 1-line block ×4, first 2 shown]
	v_mul_f16_sdwa v59, v17, v53 dst_sel:DWORD dst_unused:UNUSED_PAD src0_sel:WORD_1 src1_sel:DWORD
	v_mul_f16_sdwa v60, v17, v32 dst_sel:DWORD dst_unused:UNUSED_PAD src0_sel:WORD_1 src1_sel:DWORD
	;; [unrolled: 1-line block ×4, first 2 shown]
	v_mul_f16_sdwa v67, v4, v15 dst_sel:DWORD dst_unused:UNUSED_PAD src0_sel:DWORD src1_sel:WORD_1
	v_mul_f16_sdwa v68, v29, v15 dst_sel:DWORD dst_unused:UNUSED_PAD src0_sel:DWORD src1_sel:WORD_1
	v_mul_f16_sdwa v69, v8, v16 dst_sel:DWORD dst_unused:UNUSED_PAD src0_sel:DWORD src1_sel:WORD_1
	v_mul_f16_sdwa v70, v31, v16 dst_sel:DWORD dst_unused:UNUSED_PAD src0_sel:DWORD src1_sel:WORD_1
	v_mul_f16_sdwa v71, v49, v17 dst_sel:DWORD dst_unused:UNUSED_PAD src0_sel:DWORD src1_sel:WORD_1
	v_mul_f16_sdwa v72, v33, v17 dst_sel:DWORD dst_unused:UNUSED_PAD src0_sel:DWORD src1_sel:WORD_1
	v_mul_f16_sdwa v75, v51, v26 dst_sel:DWORD dst_unused:UNUSED_PAD src0_sel:DWORD src1_sel:WORD_1
	v_mul_f16_sdwa v76, v37, v26 dst_sel:DWORD dst_unused:UNUSED_PAD src0_sel:DWORD src1_sel:WORD_1
	v_mul_f16_sdwa v77, v52, v27 dst_sel:DWORD dst_unused:UNUSED_PAD src0_sel:DWORD src1_sel:WORD_1
	v_mul_f16_sdwa v78, v39, v27 dst_sel:DWORD dst_unused:UNUSED_PAD src0_sel:DWORD src1_sel:WORD_1
	v_mul_f16_sdwa v73, v50, v18 dst_sel:DWORD dst_unused:UNUSED_PAD src0_sel:DWORD src1_sel:WORD_1
	v_mul_f16_sdwa v74, v35, v18 dst_sel:DWORD dst_unused:UNUSED_PAD src0_sel:DWORD src1_sel:WORD_1
	v_fma_f16 v28, v15, v28, -v55
	v_fmac_f16_e32 v56, v15, v45
	v_fma_f16 v30, v16, v30, -v57
	v_fmac_f16_e32 v58, v16, v46
	;; [unrolled: 2-line block ×12, first 2 shown]
	v_add_f16_e32 v18, v28, v38
	v_add_f16_e32 v26, v56, v66
	;; [unrolled: 1-line block ×4, first 2 shown]
	v_sub_f16_e32 v27, v28, v38
	v_sub_f16_e32 v28, v56, v66
	;; [unrolled: 1-line block ×4, first 2 shown]
	v_add_f16_e32 v36, v32, v34
	v_add_f16_e32 v37, v60, v62
	v_sub_f16_e32 v32, v34, v32
	v_sub_f16_e32 v34, v62, v60
	v_add_f16_e32 v38, v29, v17
	v_add_f16_e32 v39, v68, v78
	;; [unrolled: 1-line block ×4, first 2 shown]
	v_sub_f16_e32 v17, v29, v17
	v_sub_f16_e32 v29, v68, v78
	;; [unrolled: 1-line block ×4, first 2 shown]
	v_add_f16_e32 v47, v8, v15
	v_sub_f16_e32 v8, v15, v8
	v_sub_f16_e32 v15, v74, v72
	v_add_f16_e32 v49, v31, v18
	v_add_f16_e32 v50, v33, v26
	v_add_f16_e32 v48, v72, v74
	v_sub_f16_e32 v51, v31, v18
	v_sub_f16_e32 v52, v33, v26
	;; [unrolled: 1-line block ×6, first 2 shown]
	v_add_f16_e32 v53, v32, v30
	v_add_f16_e32 v54, v34, v35
	v_sub_f16_e32 v55, v32, v30
	v_sub_f16_e32 v56, v34, v35
	;; [unrolled: 1-line block ×4, first 2 shown]
	v_add_f16_e32 v57, v45, v38
	v_add_f16_e32 v58, v46, v39
	v_sub_f16_e32 v59, v45, v38
	v_sub_f16_e32 v45, v47, v45
	v_add_f16_e32 v62, v15, v16
	v_sub_f16_e32 v64, v15, v16
	v_sub_f16_e32 v16, v16, v29
	v_add_f16_e32 v36, v36, v49
	v_add_f16_e32 v37, v37, v50
	;; [unrolled: 1-line block ×3, first 2 shown]
	v_sub_f16_e32 v63, v8, v4
	v_sub_f16_e32 v4, v4, v17
	;; [unrolled: 1-line block ×8, first 2 shown]
	v_add_f16_e32 v27, v53, v27
	v_add_f16_e32 v28, v54, v28
	v_mul_f16_e32 v18, 0x3a52, v18
	v_mul_f16_e32 v26, 0x3a52, v26
	;; [unrolled: 1-line block ×8, first 2 shown]
	v_add_f16_e32 v47, v47, v57
	v_add_f16_e32 v48, v48, v58
	v_sub_f16_e32 v15, v29, v15
	v_add_f16_e32 v29, v62, v29
	v_mul_f16_e32 v57, 0x2b26, v45
	v_mul_f16_e32 v62, 0xb846, v64
	v_mul_f16_e32 v64, 0x3b00, v16
	v_add_f16_e32 v65, v36, v19
	v_add_f16_sdwa v19, v37, v19 dst_sel:DWORD dst_unused:UNUSED_PAD src0_sel:DWORD src1_sel:WORD_1
	v_sub_f16_e32 v8, v17, v8
	v_add_f16_e32 v17, v61, v17
	v_mul_f16_e32 v61, 0xb846, v63
	v_mul_f16_e32 v63, 0x3b00, v4
	;; [unrolled: 1-line block ×5, first 2 shown]
	v_fmamk_f16 v31, v31, 0x2b26, v18
	v_fmamk_f16 v33, v33, 0x2b26, v26
	v_fma_f16 v49, v51, 0x39e0, -v49
	v_fma_f16 v50, v52, 0x39e0, -v50
	;; [unrolled: 1-line block ×4, first 2 shown]
	v_fmamk_f16 v51, v32, 0x3574, v53
	v_fmamk_f16 v52, v34, 0x3574, v54
	v_fma_f16 v30, v30, 0x3b00, -v53
	v_fma_f16 v35, v35, 0x3b00, -v54
	v_fma_f16 v32, v32, 0xb574, -v55
	v_fma_f16 v34, v34, 0xb574, -v56
	v_add_f16_e32 v53, v47, v44
	v_add_f16_sdwa v44, v48, v44 dst_sel:DWORD dst_unused:UNUSED_PAD src0_sel:DWORD src1_sel:WORD_1
	v_fma_f16 v54, v59, 0x39e0, -v57
	v_fmamk_f16 v57, v15, 0x3574, v62
	v_fma_f16 v16, v16, 0x3b00, -v62
	v_fma_f16 v15, v15, 0xb574, -v64
	v_fmamk_f16 v36, v36, 0xbcab, v65
	v_fmamk_f16 v37, v37, 0xbcab, v19
	;; [unrolled: 1-line block ×3, first 2 shown]
	v_fma_f16 v4, v4, 0x3b00, -v61
	v_fma_f16 v8, v8, 0xb574, -v63
	v_fmamk_f16 v45, v45, 0x2b26, v38
	v_fmamk_f16 v46, v46, 0x2b26, v39
	v_fma_f16 v55, v60, 0x39e0, -v58
	v_fma_f16 v38, v59, 0xb9e0, -v38
	;; [unrolled: 1-line block ×3, first 2 shown]
	v_fmac_f16_e32 v51, 0x370e, v27
	v_fmac_f16_e32 v52, 0x370e, v28
	;; [unrolled: 1-line block ×6, first 2 shown]
	v_fmamk_f16 v27, v47, 0xbcab, v53
	v_fmamk_f16 v28, v48, 0xbcab, v44
	v_fmac_f16_e32 v57, 0x370e, v29
	v_fmac_f16_e32 v16, 0x370e, v29
	;; [unrolled: 1-line block ×3, first 2 shown]
	v_add_f16_e32 v29, v31, v36
	v_add_f16_e32 v31, v33, v37
	v_fmac_f16_e32 v56, 0x370e, v17
	v_fmac_f16_e32 v4, 0x370e, v17
	;; [unrolled: 1-line block ×3, first 2 shown]
	v_pack_b32_f16 v17, v65, v19
	v_pack_b32_f16 v19, v53, v44
	v_add_f16_e32 v33, v49, v36
	v_add_f16_e32 v44, v50, v37
	;; [unrolled: 1-line block ×11, first 2 shown]
	v_sub_f16_e32 v39, v31, v51
	v_add_f16_e32 v47, v34, v18
	v_sub_f16_e32 v48, v26, v32
	v_sub_f16_e32 v49, v33, v35
	v_add_f16_e32 v50, v30, v44
	v_add_f16_e32 v33, v35, v33
	v_sub_f16_e32 v30, v44, v30
	v_sub_f16_e32 v18, v18, v34
	v_add_f16_e32 v26, v32, v26
	v_sub_f16_e32 v29, v29, v52
	v_add_f16_e32 v31, v51, v31
	v_add_f16_e32 v32, v57, v36
	v_sub_f16_e32 v34, v37, v56
	v_add_f16_e32 v35, v15, v27
	v_sub_f16_e32 v44, v28, v8
	v_sub_f16_e32 v51, v45, v16
	v_add_f16_e32 v52, v4, v46
	v_add_f16_e32 v16, v16, v45
	v_sub_f16_e32 v4, v46, v4
	v_sub_f16_e32 v15, v27, v15
	v_add_f16_e32 v8, v8, v28
	v_sub_f16_e32 v27, v36, v57
	v_add_f16_e32 v28, v56, v37
	v_pack_b32_f16 v36, v38, v39
	v_pack_b32_f16 v37, v47, v48
	;; [unrolled: 1-line block ×12, first 2 shown]
	ds_write2_b32 v23, v17, v36 offset1:39
	ds_write2_b32 v23, v37, v38 offset0:78 offset1:117
	ds_write2_b32 v23, v30, v18 offset0:156 offset1:195
	;; [unrolled: 1-line block ×6, first 2 shown]
	s_waitcnt lgkmcnt(0)
	s_barrier
	buffer_gl0_inv
	s_clause 0x6
	global_load_dword v4, v[40:41], off offset:1040
	global_load_dword v8, v[40:41], off offset:1352
	global_load_dword v32, v[40:41], off offset:1508
	global_load_dword v33, v[40:41], off offset:1976
	global_load_dword v34, v[42:43], off offset:1040
	global_load_dword v35, v[40:41], off offset:1664
	global_load_dword v36, v[40:41], off offset:1820
	ds_read2_b32 v[14:15], v14 offset0:106 offset1:145
	ds_read2_b32 v[16:17], v13 offset0:56 offset1:95
	;; [unrolled: 1-line block ×4, first 2 shown]
	v_lshl_add_u32 v13, v21, 2, v24
	ds_read_b32 v24, v20
	ds_read_b32 v37, v25
	ds_read2_b32 v[28:29], v23 offset0:78 offset1:117
	ds_read2_b32 v[30:31], v23 offset0:156 offset1:195
	s_waitcnt vmcnt(0) lgkmcnt(0)
	s_barrier
	buffer_gl0_inv
	v_add_nc_u32_e32 v21, 0x400, v13
	v_pk_mul_f16 v38, v4, v15 op_sel:[0,1]
	v_pk_mul_f16 v39, v8, v17 op_sel:[0,1]
	;; [unrolled: 1-line block ×7, first 2 shown]
	v_pk_fma_f16 v45, v4, v15, v38 op_sel:[0,0,1] op_sel_hi:[1,1,0] neg_lo:[0,0,1] neg_hi:[0,0,1]
	v_pk_fma_f16 v4, v4, v15, v38 op_sel:[0,0,1] op_sel_hi:[1,0,0]
	v_pk_fma_f16 v15, v8, v17, v39 op_sel:[0,0,1] op_sel_hi:[1,1,0] neg_lo:[0,0,1] neg_hi:[0,0,1]
	v_pk_fma_f16 v8, v8, v17, v39 op_sel:[0,0,1] op_sel_hi:[1,0,0]
	;; [unrolled: 2-line block ×7, first 2 shown]
	v_bfi_b32 v4, 0xffff, v45, v4
	v_bfi_b32 v8, 0xffff, v15, v8
	;; [unrolled: 1-line block ×7, first 2 shown]
	v_pk_add_f16 v4, v24, v4 neg_lo:[0,1] neg_hi:[0,1]
	v_pk_add_f16 v15, v29, v15 neg_lo:[0,1] neg_hi:[0,1]
	;; [unrolled: 1-line block ×7, first 2 shown]
	v_pk_fma_f16 v24, v24, 2.0, v4 op_sel_hi:[1,0,1] neg_lo:[0,0,1] neg_hi:[0,0,1]
	v_pk_fma_f16 v27, v29, 2.0, v15 op_sel_hi:[1,0,1] neg_lo:[0,0,1] neg_hi:[0,0,1]
	;; [unrolled: 1-line block ×7, first 2 shown]
	ds_write_b32 v23, v4 offset:1092
	ds_write_b32 v23, v24
	ds_write_b32 v25, v29
	ds_write_b32 v25, v16 offset:1092
	ds_write2_b32 v23, v26, v27 offset0:78 offset1:117
	ds_write2_b32 v21, v8, v15 offset0:95 offset1:134
	;; [unrolled: 1-line block ×4, first 2 shown]
	ds_write_b32 v23, v14 offset:936
	ds_write_b32 v13, v19 offset:2028
	s_waitcnt lgkmcnt(0)
	s_barrier
	buffer_gl0_inv
	ds_read_b32 v14, v20
	v_sub_nc_u32_e32 v4, v0, v22
                                        ; implicit-def: $vgpr13
                                        ; implicit-def: $vgpr8
	v_cmpx_ne_u32_e32 0, v3
	s_xor_b32 s5, exec_lo, s5
	s_cbranch_execz .LBB0_20
; %bb.19:
	v_add_co_u32 v15, s0, s1, v9
	v_add_co_ci_u32_e64 v16, s0, s4, v10, s0
	ds_read_b32 v8, v4 offset:2184
	global_load_dword v13, v[15:16], off
	s_waitcnt lgkmcnt(0)
	v_sub_f16_e32 v15, v14, v8
	v_add_f16_sdwa v16, v8, v14 dst_sel:DWORD dst_unused:UNUSED_PAD src0_sel:WORD_1 src1_sel:WORD_1
	v_sub_f16_sdwa v17, v14, v8 dst_sel:DWORD dst_unused:UNUSED_PAD src0_sel:WORD_1 src1_sel:WORD_1
	v_add_f16_e32 v14, v8, v14
	v_mul_f16_e32 v15, 0.5, v15
	v_mul_f16_e32 v16, 0.5, v16
	;; [unrolled: 1-line block ×3, first 2 shown]
	s_waitcnt vmcnt(0)
	v_lshrrev_b32_e32 v18, 16, v13
	v_mul_f16_e32 v19, v18, v15
	v_fma_f16 v21, v16, v18, v17
	v_fma_f16 v17, v16, v18, -v17
	v_fma_f16 v8, 0.5, v14, v19
	v_fma_f16 v14, v14, 0.5, -v19
	v_fma_f16 v18, -v13, v15, v21
	v_fma_f16 v15, -v13, v15, v17
	ds_write_b16 v20, v18 offset:2
	ds_write_b16 v4, v15 offset:2186
	v_fmac_f16_e32 v8, v13, v16
	v_fma_f16 v13, -v13, v16, v14
                                        ; implicit-def: $vgpr14
.LBB0_20:
	s_andn2_saveexec_b32 s0, s5
	s_cbranch_execz .LBB0_22
; %bb.21:
	v_mov_b32_e32 v8, 0
	ds_write_b16 v20, v8 offset:2
	ds_write_b16 v4, v8 offset:2186
	ds_read_u16 v13, v0 offset:1094
	s_waitcnt lgkmcnt(3)
	v_add_f16_sdwa v8, v14, v14 dst_sel:DWORD dst_unused:UNUSED_PAD src0_sel:WORD_1 src1_sel:DWORD
	s_waitcnt lgkmcnt(0)
	v_xor_b32_e32 v15, 0x8000, v13
	v_sub_f16_sdwa v13, v14, v14 dst_sel:DWORD dst_unused:UNUSED_PAD src0_sel:DWORD src1_sel:WORD_1
	ds_write_b16 v0, v15 offset:1094
.LBB0_22:
	s_or_b32 exec_lo, exec_lo, s0
	v_add_co_u32 v11, s0, s1, v11
	v_add_co_ci_u32_e64 v12, s0, s4, v12, s0
	v_add_co_u32 v9, s0, s1, v9
	v_add_co_ci_u32_e64 v10, s0, s4, v10, s0
	global_load_dword v11, v[11:12], off
	v_lshl_add_u32 v7, v7, 2, v0
	global_load_dword v12, v[9:10], off offset:312
	s_waitcnt lgkmcnt(0)
	s_clause 0x2
	global_load_dword v14, v[9:10], off offset:468
	global_load_dword v15, v[9:10], off offset:624
	;; [unrolled: 1-line block ×3, first 2 shown]
	ds_write_b16 v20, v8
	ds_write_b16 v4, v13 offset:2184
	ds_read_b32 v8, v7
	ds_read_b32 v13, v4 offset:2028
	global_load_dword v9, v[9:10], off offset:936
	s_waitcnt lgkmcnt(0)
	v_pk_add_f16 v10, v8, v13 neg_lo:[0,1] neg_hi:[0,1]
	v_pk_add_f16 v8, v8, v13
	v_bfi_b32 v13, 0xffff, v10, v8
	v_bfi_b32 v8, 0xffff, v8, v10
	v_pk_mul_f16 v10, v13, 0.5 op_sel_hi:[1,0]
	v_pk_mul_f16 v8, v8, 0.5 op_sel_hi:[1,0]
	s_waitcnt vmcnt(5)
	v_pk_fma_f16 v13, v11, v10, v8 op_sel:[1,0,0]
	v_pk_mul_f16 v17, v11, v10 op_sel_hi:[0,1]
	v_pk_fma_f16 v18, v11, v10, v8 op_sel:[1,0,0] neg_lo:[1,0,0] neg_hi:[1,0,0]
	v_pk_fma_f16 v8, v11, v10, v8 op_sel:[1,0,0] neg_lo:[0,0,1] neg_hi:[0,0,1]
	v_pk_add_f16 v10, v13, v17 op_sel:[0,1] op_sel_hi:[1,0]
	v_pk_add_f16 v11, v13, v17 op_sel:[0,1] op_sel_hi:[1,0] neg_lo:[0,1] neg_hi:[0,1]
	v_pk_add_f16 v13, v18, v17 op_sel:[0,1] op_sel_hi:[1,0] neg_lo:[0,1] neg_hi:[0,1]
	;; [unrolled: 1-line block ×3, first 2 shown]
	v_bfi_b32 v10, 0xffff, v10, v11
	v_bfi_b32 v8, 0xffff, v13, v8
	ds_write_b32 v7, v10
	ds_write_b32 v4, v8 offset:2028
	ds_read_b32 v7, v20 offset:312
	ds_read_b32 v8, v4 offset:1872
	s_waitcnt lgkmcnt(0)
	v_pk_add_f16 v10, v7, v8 neg_lo:[0,1] neg_hi:[0,1]
	v_pk_add_f16 v7, v7, v8
	v_bfi_b32 v8, 0xffff, v10, v7
	v_bfi_b32 v7, 0xffff, v7, v10
	v_pk_mul_f16 v8, v8, 0.5 op_sel_hi:[1,0]
	v_pk_mul_f16 v11, v7, 0.5 op_sel_hi:[1,0]
	s_waitcnt vmcnt(4)
	v_pk_mul_f16 v10, v12, v8 op_sel:[1,0]
	v_pk_mul_f16 v8, v12, v8 op_sel_hi:[0,1]
	v_pk_fma_f16 v7, v7, 0.5, v10 op_sel_hi:[1,0,1]
	v_sub_f16_sdwa v12, v10, v11 dst_sel:DWORD dst_unused:UNUSED_PAD src0_sel:WORD_1 src1_sel:WORD_1
	v_sub_f16_e32 v10, v11, v10
	v_pk_add_f16 v13, v7, v8 op_sel:[0,1] op_sel_hi:[1,0]
	v_pk_add_f16 v7, v7, v8 op_sel:[0,1] op_sel_hi:[1,0] neg_lo:[0,1] neg_hi:[0,1]
	v_sub_f16_e32 v11, v12, v8
	v_sub_f16_sdwa v8, v10, v8 dst_sel:DWORD dst_unused:UNUSED_PAD src0_sel:DWORD src1_sel:WORD_1
	v_bfi_b32 v7, 0xffff, v13, v7
	ds_write_b16 v4, v11 offset:1874
	ds_write_b32 v20, v7 offset:312
	ds_write_b16 v4, v8 offset:1872
	ds_read_b32 v7, v20 offset:468
	ds_read_b32 v8, v4 offset:1716
	s_waitcnt lgkmcnt(0)
	v_pk_add_f16 v10, v7, v8 neg_lo:[0,1] neg_hi:[0,1]
	v_pk_add_f16 v7, v7, v8
	v_bfi_b32 v8, 0xffff, v10, v7
	v_bfi_b32 v7, 0xffff, v7, v10
	v_pk_mul_f16 v8, v8, 0.5 op_sel_hi:[1,0]
	v_pk_mul_f16 v11, v7, 0.5 op_sel_hi:[1,0]
	s_waitcnt vmcnt(3)
	v_pk_mul_f16 v10, v14, v8 op_sel:[1,0]
	v_pk_mul_f16 v8, v14, v8 op_sel_hi:[0,1]
	v_pk_fma_f16 v7, v7, 0.5, v10 op_sel_hi:[1,0,1]
	v_sub_f16_sdwa v12, v10, v11 dst_sel:DWORD dst_unused:UNUSED_PAD src0_sel:WORD_1 src1_sel:WORD_1
	v_sub_f16_e32 v10, v11, v10
	v_pk_add_f16 v13, v7, v8 op_sel:[0,1] op_sel_hi:[1,0]
	v_pk_add_f16 v7, v7, v8 op_sel:[0,1] op_sel_hi:[1,0] neg_lo:[0,1] neg_hi:[0,1]
	v_sub_f16_e32 v11, v12, v8
	v_sub_f16_sdwa v8, v10, v8 dst_sel:DWORD dst_unused:UNUSED_PAD src0_sel:DWORD src1_sel:WORD_1
	v_bfi_b32 v7, 0xffff, v13, v7
	ds_write_b16 v4, v11 offset:1718
	ds_write_b32 v20, v7 offset:468
	ds_write_b16 v4, v8 offset:1716
	;; [unrolled: 23-line block ×3, first 2 shown]
	ds_read_b32 v7, v20 offset:780
	ds_read_b32 v8, v4 offset:1404
	s_waitcnt lgkmcnt(0)
	v_pk_add_f16 v10, v7, v8 neg_lo:[0,1] neg_hi:[0,1]
	v_pk_add_f16 v7, v7, v8
	v_bfi_b32 v8, 0xffff, v10, v7
	v_bfi_b32 v7, 0xffff, v7, v10
	v_pk_mul_f16 v8, v8, 0.5 op_sel_hi:[1,0]
	v_pk_mul_f16 v7, v7, 0.5 op_sel_hi:[1,0]
	s_waitcnt vmcnt(1)
	v_pk_mul_f16 v11, v16, v8 op_sel_hi:[0,1]
	v_pk_fma_f16 v10, v16, v8, v7 op_sel:[1,0,0]
	v_pk_fma_f16 v12, v16, v8, v7 op_sel:[1,0,0] neg_lo:[1,0,0] neg_hi:[1,0,0]
	v_pk_fma_f16 v7, v16, v8, v7 op_sel:[1,0,0] neg_lo:[0,0,1] neg_hi:[0,0,1]
	v_pk_add_f16 v8, v10, v11 op_sel:[0,1] op_sel_hi:[1,0]
	v_pk_add_f16 v10, v10, v11 op_sel:[0,1] op_sel_hi:[1,0] neg_lo:[0,1] neg_hi:[0,1]
	v_pk_add_f16 v12, v12, v11 op_sel:[0,1] op_sel_hi:[1,0] neg_lo:[0,1] neg_hi:[0,1]
	;; [unrolled: 1-line block ×3, first 2 shown]
	v_bfi_b32 v8, 0xffff, v8, v10
	v_bfi_b32 v7, 0xffff, v12, v7
	ds_write_b32 v20, v8 offset:780
	ds_write_b32 v4, v7 offset:1404
	ds_read_b32 v7, v20 offset:936
	ds_read_b32 v8, v4 offset:1248
	s_waitcnt lgkmcnt(0)
	v_pk_add_f16 v10, v7, v8 neg_lo:[0,1] neg_hi:[0,1]
	v_pk_add_f16 v7, v7, v8
	v_bfi_b32 v8, 0xffff, v10, v7
	v_bfi_b32 v7, 0xffff, v7, v10
	v_pk_mul_f16 v8, v8, 0.5 op_sel_hi:[1,0]
	v_pk_mul_f16 v7, v7, 0.5 op_sel_hi:[1,0]
	s_waitcnt vmcnt(0)
	v_pk_mul_f16 v11, v9, v8 op_sel_hi:[0,1]
	v_pk_fma_f16 v10, v9, v8, v7 op_sel:[1,0,0]
	v_pk_fma_f16 v12, v9, v8, v7 op_sel:[1,0,0] neg_lo:[1,0,0] neg_hi:[1,0,0]
	v_pk_fma_f16 v7, v9, v8, v7 op_sel:[1,0,0] neg_lo:[0,0,1] neg_hi:[0,0,1]
	v_pk_add_f16 v8, v10, v11 op_sel:[0,1] op_sel_hi:[1,0]
	v_pk_add_f16 v9, v10, v11 op_sel:[0,1] op_sel_hi:[1,0] neg_lo:[0,1] neg_hi:[0,1]
	v_pk_add_f16 v10, v12, v11 op_sel:[0,1] op_sel_hi:[1,0] neg_lo:[0,1] neg_hi:[0,1]
	;; [unrolled: 1-line block ×3, first 2 shown]
	v_bfi_b32 v8, 0xffff, v8, v9
	v_bfi_b32 v7, 0xffff, v10, v7
	ds_write_b32 v20, v8 offset:936
	ds_write_b32 v4, v7 offset:1248
	s_waitcnt lgkmcnt(0)
	s_barrier
	buffer_gl0_inv
	s_and_saveexec_b32 s0, vcc_lo
	s_cbranch_execz .LBB0_25
; %bb.23:
	v_mul_lo_u32 v4, s3, v5
	v_mul_lo_u32 v7, s2, v6
	v_mad_u64_u32 v[5:6], null, s2, v5, 0
	v_lshl_add_u32 v0, v3, 2, v0
	v_lshlrev_b64 v[1:2], 2, v[1:2]
	v_add_nc_u32_e32 v9, 0x4e, v3
	v_add_nc_u32_e32 v15, 0xc3, v3
	;; [unrolled: 1-line block ×3, first 2 shown]
	ds_read2_b32 v[11:12], v0 offset1:39
	v_add3_u32 v6, v6, v7, v4
	v_mov_b32_e32 v4, 0
	v_add_nc_u32_e32 v7, 39, v3
	v_add_nc_u32_e32 v19, 0x200, v0
	v_lshlrev_b64 v[5:6], 2, v[5:6]
	v_mov_b32_e32 v8, v4
	v_lshlrev_b64 v[13:14], 2, v[3:4]
	v_mov_b32_e32 v10, v4
	v_mov_b32_e32 v16, v4
	;; [unrolled: 1-line block ×3, first 2 shown]
	v_add_co_u32 v5, vcc_lo, s10, v5
	v_add_co_ci_u32_e32 v6, vcc_lo, s11, v6, vcc_lo
	v_lshlrev_b64 v[15:16], 2, v[15:16]
	v_add_co_u32 v1, vcc_lo, v5, v1
	v_add_co_ci_u32_e32 v2, vcc_lo, v6, v2, vcc_lo
	v_lshlrev_b64 v[5:6], 2, v[7:8]
	v_add_co_u32 v7, vcc_lo, v1, v13
	v_add_co_ci_u32_e32 v8, vcc_lo, v2, v14, vcc_lo
	v_add_nc_u32_e32 v13, 0x75, v3
	v_add_co_u32 v5, vcc_lo, v1, v5
	v_add_co_ci_u32_e32 v6, vcc_lo, v2, v6, vcc_lo
	v_mov_b32_e32 v14, v4
	s_waitcnt lgkmcnt(0)
	global_store_dword v[7:8], v11, off
	global_store_dword v[5:6], v12, off
	ds_read2_b32 v[5:6], v0 offset0:78 offset1:117
	v_lshlrev_b64 v[7:8], 2, v[9:10]
	v_lshlrev_b64 v[9:10], 2, v[13:14]
	ds_read2_b32 v[13:14], v0 offset0:156 offset1:195
	v_add_nc_u32_e32 v11, 0x9c, v3
	v_mov_b32_e32 v12, v4
	ds_read2_b32 v[19:20], v19 offset0:106 offset1:145
	v_add_co_u32 v7, vcc_lo, v1, v7
	v_add_co_ci_u32_e32 v8, vcc_lo, v2, v8, vcc_lo
	v_lshlrev_b64 v[11:12], 2, v[11:12]
	v_add_co_u32 v9, vcc_lo, v1, v9
	v_add_co_ci_u32_e32 v10, vcc_lo, v2, v10, vcc_lo
	v_add_co_u32 v11, vcc_lo, v1, v11
	v_add_co_ci_u32_e32 v12, vcc_lo, v2, v12, vcc_lo
	s_waitcnt lgkmcnt(2)
	global_store_dword v[7:8], v5, off
	global_store_dword v[9:10], v6, off
	s_waitcnt lgkmcnt(1)
	global_store_dword v[11:12], v13, off
	v_lshlrev_b64 v[5:6], 2, v[17:18]
	v_add_co_u32 v7, vcc_lo, v1, v15
	v_add_co_ci_u32_e32 v8, vcc_lo, v2, v16, vcc_lo
	v_add_nc_u32_e32 v15, 0x400, v0
	v_add_co_u32 v5, vcc_lo, v1, v5
	v_add_co_ci_u32_e32 v6, vcc_lo, v2, v6, vcc_lo
	v_add_nc_u32_e32 v9, 0x111, v3
	v_mov_b32_e32 v10, v4
	v_add_nc_u32_e32 v11, 0x138, v3
	v_mov_b32_e32 v12, v4
	global_store_dword v[7:8], v14, off
	s_waitcnt lgkmcnt(0)
	global_store_dword v[5:6], v19, off
	ds_read2_b32 v[7:8], v15 offset0:56 offset1:95
	v_lshlrev_b64 v[5:6], 2, v[9:10]
	v_add_nc_u32_e32 v13, 0x186, v3
	v_lshlrev_b64 v[9:10], 2, v[11:12]
	v_add_nc_u32_e32 v11, 0x15f, v3
	v_mov_b32_e32 v14, v4
	v_mov_b32_e32 v16, v4
	v_add_co_u32 v5, vcc_lo, v1, v5
	v_lshlrev_b64 v[11:12], 2, v[11:12]
	v_add_co_ci_u32_e32 v6, vcc_lo, v2, v6, vcc_lo
	v_add_co_u32 v9, vcc_lo, v1, v9
	v_add_co_ci_u32_e32 v10, vcc_lo, v2, v10, vcc_lo
	v_add_co_u32 v11, vcc_lo, v1, v11
	v_add_co_ci_u32_e32 v12, vcc_lo, v2, v12, vcc_lo
	global_store_dword v[5:6], v20, off
	s_waitcnt lgkmcnt(0)
	global_store_dword v[9:10], v7, off
	global_store_dword v[11:12], v8, off
	v_add_nc_u32_e32 v9, 0x1ad, v3
	v_mov_b32_e32 v10, v4
	v_lshlrev_b64 v[7:8], 2, v[13:14]
	v_add_nc_u32_e32 v11, 0x1d4, v3
	v_mov_b32_e32 v12, v4
	ds_read2_b32 v[5:6], v15 offset0:134 offset1:173
	v_lshlrev_b64 v[9:10], 2, v[9:10]
	ds_read2_b32 v[13:14], v15 offset0:212 offset1:251
	v_add_nc_u32_e32 v15, 0x1fb, v3
	v_add_co_u32 v7, vcc_lo, v1, v7
	v_lshlrev_b64 v[11:12], 2, v[11:12]
	v_add_co_ci_u32_e32 v8, vcc_lo, v2, v8, vcc_lo
	v_add_co_u32 v9, vcc_lo, v1, v9
	v_lshlrev_b64 v[15:16], 2, v[15:16]
	v_add_co_ci_u32_e32 v10, vcc_lo, v2, v10, vcc_lo
	v_add_co_u32 v11, vcc_lo, v1, v11
	v_add_co_ci_u32_e32 v12, vcc_lo, v2, v12, vcc_lo
	v_add_co_u32 v15, vcc_lo, v1, v15
	v_add_co_ci_u32_e32 v16, vcc_lo, v2, v16, vcc_lo
	v_cmp_eq_u32_e32 vcc_lo, 38, v3
	s_waitcnt lgkmcnt(1)
	global_store_dword v[7:8], v5, off
	global_store_dword v[9:10], v6, off
	s_waitcnt lgkmcnt(0)
	global_store_dword v[11:12], v13, off
	global_store_dword v[15:16], v14, off
	s_and_b32 exec_lo, exec_lo, vcc_lo
	s_cbranch_execz .LBB0_25
; %bb.24:
	ds_read_b32 v3, v0 offset:2032
	v_add_co_u32 v0, vcc_lo, 0x800, v1
	v_add_co_ci_u32_e32 v1, vcc_lo, 0, v2, vcc_lo
	s_waitcnt lgkmcnt(0)
	global_store_dword v[0:1], v3, off offset:136
.LBB0_25:
	s_endpgm
	.section	.rodata,"a",@progbits
	.p2align	6, 0x0
	.amdhsa_kernel fft_rtc_fwd_len546_factors_13_3_7_2_wgs_117_tpt_39_halfLds_half_op_CI_CI_unitstride_sbrr_R2C_dirReg
		.amdhsa_group_segment_fixed_size 0
		.amdhsa_private_segment_fixed_size 0
		.amdhsa_kernarg_size 104
		.amdhsa_user_sgpr_count 6
		.amdhsa_user_sgpr_private_segment_buffer 1
		.amdhsa_user_sgpr_dispatch_ptr 0
		.amdhsa_user_sgpr_queue_ptr 0
		.amdhsa_user_sgpr_kernarg_segment_ptr 1
		.amdhsa_user_sgpr_dispatch_id 0
		.amdhsa_user_sgpr_flat_scratch_init 0
		.amdhsa_user_sgpr_private_segment_size 0
		.amdhsa_wavefront_size32 1
		.amdhsa_uses_dynamic_stack 0
		.amdhsa_system_sgpr_private_segment_wavefront_offset 0
		.amdhsa_system_sgpr_workgroup_id_x 1
		.amdhsa_system_sgpr_workgroup_id_y 0
		.amdhsa_system_sgpr_workgroup_id_z 0
		.amdhsa_system_sgpr_workgroup_info 0
		.amdhsa_system_vgpr_workitem_id 0
		.amdhsa_next_free_vgpr 126
		.amdhsa_next_free_sgpr 27
		.amdhsa_reserve_vcc 1
		.amdhsa_reserve_flat_scratch 0
		.amdhsa_float_round_mode_32 0
		.amdhsa_float_round_mode_16_64 0
		.amdhsa_float_denorm_mode_32 3
		.amdhsa_float_denorm_mode_16_64 3
		.amdhsa_dx10_clamp 1
		.amdhsa_ieee_mode 1
		.amdhsa_fp16_overflow 0
		.amdhsa_workgroup_processor_mode 1
		.amdhsa_memory_ordered 1
		.amdhsa_forward_progress 0
		.amdhsa_shared_vgpr_count 0
		.amdhsa_exception_fp_ieee_invalid_op 0
		.amdhsa_exception_fp_denorm_src 0
		.amdhsa_exception_fp_ieee_div_zero 0
		.amdhsa_exception_fp_ieee_overflow 0
		.amdhsa_exception_fp_ieee_underflow 0
		.amdhsa_exception_fp_ieee_inexact 0
		.amdhsa_exception_int_div_zero 0
	.end_amdhsa_kernel
	.text
.Lfunc_end0:
	.size	fft_rtc_fwd_len546_factors_13_3_7_2_wgs_117_tpt_39_halfLds_half_op_CI_CI_unitstride_sbrr_R2C_dirReg, .Lfunc_end0-fft_rtc_fwd_len546_factors_13_3_7_2_wgs_117_tpt_39_halfLds_half_op_CI_CI_unitstride_sbrr_R2C_dirReg
                                        ; -- End function
	.section	.AMDGPU.csdata,"",@progbits
; Kernel info:
; codeLenInByte = 13928
; NumSgprs: 29
; NumVgprs: 126
; ScratchSize: 0
; MemoryBound: 0
; FloatMode: 240
; IeeeMode: 1
; LDSByteSize: 0 bytes/workgroup (compile time only)
; SGPRBlocks: 3
; VGPRBlocks: 15
; NumSGPRsForWavesPerEU: 29
; NumVGPRsForWavesPerEU: 126
; Occupancy: 8
; WaveLimiterHint : 1
; COMPUTE_PGM_RSRC2:SCRATCH_EN: 0
; COMPUTE_PGM_RSRC2:USER_SGPR: 6
; COMPUTE_PGM_RSRC2:TRAP_HANDLER: 0
; COMPUTE_PGM_RSRC2:TGID_X_EN: 1
; COMPUTE_PGM_RSRC2:TGID_Y_EN: 0
; COMPUTE_PGM_RSRC2:TGID_Z_EN: 0
; COMPUTE_PGM_RSRC2:TIDIG_COMP_CNT: 0
	.text
	.p2alignl 6, 3214868480
	.fill 48, 4, 3214868480
	.type	__hip_cuid_38bef8450cc022d2,@object ; @__hip_cuid_38bef8450cc022d2
	.section	.bss,"aw",@nobits
	.globl	__hip_cuid_38bef8450cc022d2
__hip_cuid_38bef8450cc022d2:
	.byte	0                               ; 0x0
	.size	__hip_cuid_38bef8450cc022d2, 1

	.ident	"AMD clang version 19.0.0git (https://github.com/RadeonOpenCompute/llvm-project roc-6.4.0 25133 c7fe45cf4b819c5991fe208aaa96edf142730f1d)"
	.section	".note.GNU-stack","",@progbits
	.addrsig
	.addrsig_sym __hip_cuid_38bef8450cc022d2
	.amdgpu_metadata
---
amdhsa.kernels:
  - .args:
      - .actual_access:  read_only
        .address_space:  global
        .offset:         0
        .size:           8
        .value_kind:     global_buffer
      - .offset:         8
        .size:           8
        .value_kind:     by_value
      - .actual_access:  read_only
        .address_space:  global
        .offset:         16
        .size:           8
        .value_kind:     global_buffer
      - .actual_access:  read_only
        .address_space:  global
        .offset:         24
        .size:           8
        .value_kind:     global_buffer
      - .actual_access:  read_only
        .address_space:  global
        .offset:         32
        .size:           8
        .value_kind:     global_buffer
      - .offset:         40
        .size:           8
        .value_kind:     by_value
      - .actual_access:  read_only
        .address_space:  global
        .offset:         48
        .size:           8
        .value_kind:     global_buffer
      - .actual_access:  read_only
        .address_space:  global
        .offset:         56
        .size:           8
        .value_kind:     global_buffer
      - .offset:         64
        .size:           4
        .value_kind:     by_value
      - .actual_access:  read_only
        .address_space:  global
        .offset:         72
        .size:           8
        .value_kind:     global_buffer
      - .actual_access:  read_only
        .address_space:  global
        .offset:         80
        .size:           8
        .value_kind:     global_buffer
      - .actual_access:  read_only
        .address_space:  global
        .offset:         88
        .size:           8
        .value_kind:     global_buffer
      - .actual_access:  write_only
        .address_space:  global
        .offset:         96
        .size:           8
        .value_kind:     global_buffer
    .group_segment_fixed_size: 0
    .kernarg_segment_align: 8
    .kernarg_segment_size: 104
    .language:       OpenCL C
    .language_version:
      - 2
      - 0
    .max_flat_workgroup_size: 117
    .name:           fft_rtc_fwd_len546_factors_13_3_7_2_wgs_117_tpt_39_halfLds_half_op_CI_CI_unitstride_sbrr_R2C_dirReg
    .private_segment_fixed_size: 0
    .sgpr_count:     29
    .sgpr_spill_count: 0
    .symbol:         fft_rtc_fwd_len546_factors_13_3_7_2_wgs_117_tpt_39_halfLds_half_op_CI_CI_unitstride_sbrr_R2C_dirReg.kd
    .uniform_work_group_size: 1
    .uses_dynamic_stack: false
    .vgpr_count:     126
    .vgpr_spill_count: 0
    .wavefront_size: 32
    .workgroup_processor_mode: 1
amdhsa.target:   amdgcn-amd-amdhsa--gfx1030
amdhsa.version:
  - 1
  - 2
...

	.end_amdgpu_metadata
